;; amdgpu-corpus repo=ROCm/rocFFT kind=compiled arch=gfx906 opt=O3
	.text
	.amdgcn_target "amdgcn-amd-amdhsa--gfx906"
	.amdhsa_code_object_version 6
	.protected	bluestein_single_back_len1859_dim1_half_op_CI_CI ; -- Begin function bluestein_single_back_len1859_dim1_half_op_CI_CI
	.globl	bluestein_single_back_len1859_dim1_half_op_CI_CI
	.p2align	8
	.type	bluestein_single_back_len1859_dim1_half_op_CI_CI,@function
bluestein_single_back_len1859_dim1_half_op_CI_CI: ; @bluestein_single_back_len1859_dim1_half_op_CI_CI
; %bb.0:
	s_load_dwordx4 s[0:3], s[4:5], 0x28
	v_mul_u32_u24_e32 v1, 0x184, v0
	v_add_u32_sdwa v20, s6, v1 dst_sel:DWORD dst_unused:UNUSED_PAD src0_sel:DWORD src1_sel:WORD_1
	v_mov_b32_e32 v21, 0
	s_waitcnt lgkmcnt(0)
	v_cmp_gt_u64_e32 vcc, s[0:1], v[20:21]
	s_and_saveexec_b64 s[0:1], vcc
	s_cbranch_execz .LBB0_23
; %bb.1:
	s_load_dwordx2 s[6:7], s[4:5], 0x0
	s_load_dwordx2 s[12:13], s[4:5], 0x38
	s_movk_i32 s0, 0xa9
	v_mul_lo_u16_sdwa v1, v1, s0 dst_sel:DWORD dst_unused:UNUSED_PAD src0_sel:WORD_1 src1_sel:DWORD
	v_sub_u16_e32 v37, v0, v1
	s_movk_i32 s0, 0x8f
	v_cmp_gt_u16_e64 s[0:1], s0, v37
	v_lshlrev_b32_e32 v36, 2, v37
	s_and_saveexec_b64 s[14:15], s[0:1]
	s_cbranch_execz .LBB0_3
; %bb.2:
	s_load_dwordx2 s[8:9], s[4:5], 0x18
	s_waitcnt lgkmcnt(0)
	s_load_dwordx4 s[8:11], s[8:9], 0x0
	s_waitcnt lgkmcnt(0)
	v_mad_u64_u32 v[0:1], s[16:17], s10, v20, 0
	v_mad_u64_u32 v[2:3], s[16:17], s8, v37, 0
	;; [unrolled: 1-line block ×4, first 2 shown]
	v_mov_b32_e32 v1, v4
	v_lshlrev_b64 v[0:1], 2, v[0:1]
	v_mov_b32_e32 v3, v5
	v_mov_b32_e32 v6, s3
	v_lshlrev_b64 v[2:3], 2, v[2:3]
	v_add_co_u32_e32 v0, vcc, s2, v0
	v_addc_co_u32_e32 v1, vcc, v6, v1, vcc
	v_add_co_u32_e32 v0, vcc, v0, v2
	v_addc_co_u32_e32 v1, vcc, v1, v3, vcc
	global_load_dword v4, v[0:1], off
	global_load_dword v5, v36, s[6:7]
	v_mov_b32_e32 v2, s7
	v_add_co_u32_e32 v3, vcc, s6, v36
	s_mul_i32 s3, s9, 0x23c
	s_mul_hi_u32 s9, s8, 0x23c
	v_addc_co_u32_e32 v13, vcc, 0, v2, vcc
	s_mulk_i32 s8, 0x23c
	s_add_i32 s3, s9, s3
	v_mov_b32_e32 v2, s3
	v_add_co_u32_e32 v0, vcc, s8, v0
	v_addc_co_u32_e32 v1, vcc, v1, v2, vcc
	global_load_dword v6, v36, s[6:7] offset:572
	global_load_dword v7, v36, s[6:7] offset:1144
	;; [unrolled: 1-line block ×7, first 2 shown]
	global_load_dword v16, v[0:1], off
	v_mov_b32_e32 v14, s3
	v_add_co_u32_e32 v0, vcc, s8, v0
	v_addc_co_u32_e32 v1, vcc, v1, v14, vcc
	global_load_dword v14, v[0:1], off
	v_mov_b32_e32 v15, s3
	v_add_co_u32_e32 v0, vcc, s8, v0
	s_movk_i32 s2, 0x1000
	v_addc_co_u32_e32 v1, vcc, v1, v15, vcc
	global_load_dword v15, v[0:1], off
	v_add_co_u32_e32 v2, vcc, s2, v3
	v_addc_co_u32_e32 v3, vcc, 0, v13, vcc
	v_mov_b32_e32 v13, s3
	v_add_co_u32_e32 v0, vcc, s8, v0
	v_addc_co_u32_e32 v1, vcc, v1, v13, vcc
	global_load_dword v13, v[0:1], off
	v_mov_b32_e32 v17, s3
	v_add_co_u32_e32 v0, vcc, s8, v0
	v_addc_co_u32_e32 v1, vcc, v1, v17, vcc
	global_load_dword v17, v[0:1], off
	;; [unrolled: 4-line block ×5, first 2 shown]
	v_mov_b32_e32 v22, s3
	v_add_co_u32_e32 v0, vcc, s8, v0
	v_addc_co_u32_e32 v1, vcc, v1, v22, vcc
	global_load_dword v22, v[2:3], off offset:480
	global_load_dword v23, v[0:1], off
	v_mov_b32_e32 v27, s3
	v_add_co_u32_e32 v0, vcc, s8, v0
	v_addc_co_u32_e32 v1, vcc, v1, v27, vcc
	v_mov_b32_e32 v29, s3
	s_waitcnt vmcnt(18)
	v_lshrrev_b32_e32 v24, 16, v4
	s_waitcnt vmcnt(17)
	v_mul_f16_sdwa v26, v5, v24 dst_sel:DWORD dst_unused:UNUSED_PAD src0_sel:WORD_1 src1_sel:DWORD
	v_mul_f16_sdwa v25, v5, v4 dst_sel:DWORD dst_unused:UNUSED_PAD src0_sel:WORD_1 src1_sel:DWORD
	v_fma_f16 v4, v5, v4, v26
	global_load_dword v26, v[2:3], off offset:1052
	global_load_dword v27, v[0:1], off
	global_load_dword v28, v[2:3], off offset:1624
	v_add_co_u32_e32 v0, vcc, s8, v0
	v_addc_co_u32_e32 v1, vcc, v1, v29, vcc
	global_load_dword v29, v[0:1], off
	global_load_dword v30, v[2:3], off offset:2196
	v_fma_f16 v5, v5, v24, -v25
	v_mov_b32_e32 v24, s3
	v_add_co_u32_e32 v0, vcc, s8, v0
	v_addc_co_u32_e32 v1, vcc, v1, v24, vcc
	global_load_dword v24, v[0:1], off
	global_load_dword v25, v[2:3], off offset:2768
	s_waitcnt vmcnt(16)
	v_lshrrev_b32_e32 v1, 16, v16
	v_mul_f16_sdwa v2, v6, v1 dst_sel:DWORD dst_unused:UNUSED_PAD src0_sel:WORD_1 src1_sel:DWORD
	v_mul_f16_sdwa v3, v6, v16 dst_sel:DWORD dst_unused:UNUSED_PAD src0_sel:WORD_1 src1_sel:DWORD
	v_fma_f16 v2, v6, v16, v2
	v_fma_f16 v1, v6, v1, -v3
	v_pack_b32_f16 v0, v4, v5
	v_pack_b32_f16 v1, v2, v1
	ds_write2_b32 v36, v0, v1 offset1:143
	s_waitcnt vmcnt(15)
	v_lshrrev_b32_e32 v0, 16, v14
	v_mul_f16_sdwa v1, v7, v0 dst_sel:DWORD dst_unused:UNUSED_PAD src0_sel:WORD_1 src1_sel:DWORD
	v_mul_f16_sdwa v2, v7, v14 dst_sel:DWORD dst_unused:UNUSED_PAD src0_sel:WORD_1 src1_sel:DWORD
	v_fma_f16 v1, v7, v14, v1
	v_fma_f16 v0, v7, v0, -v2
	v_pack_b32_f16 v0, v1, v0
	s_waitcnt vmcnt(14)
	v_lshrrev_b32_e32 v1, 16, v15
	v_mul_f16_sdwa v2, v8, v1 dst_sel:DWORD dst_unused:UNUSED_PAD src0_sel:WORD_1 src1_sel:DWORD
	v_mul_f16_sdwa v3, v8, v15 dst_sel:DWORD dst_unused:UNUSED_PAD src0_sel:WORD_1 src1_sel:DWORD
	v_fma_f16 v2, v8, v15, v2
	v_fma_f16 v1, v8, v1, -v3
	v_pack_b32_f16 v1, v2, v1
	v_add_u32_e32 v2, 0x400, v36
	ds_write2_b32 v2, v0, v1 offset0:30 offset1:173
	s_waitcnt vmcnt(13)
	v_lshrrev_b32_e32 v0, 16, v13
	v_mul_f16_sdwa v1, v9, v0 dst_sel:DWORD dst_unused:UNUSED_PAD src0_sel:WORD_1 src1_sel:DWORD
	v_mul_f16_sdwa v2, v9, v13 dst_sel:DWORD dst_unused:UNUSED_PAD src0_sel:WORD_1 src1_sel:DWORD
	v_fma_f16 v1, v9, v13, v1
	v_fma_f16 v0, v9, v0, -v2
	v_pack_b32_f16 v0, v1, v0
	s_waitcnt vmcnt(12)
	v_lshrrev_b32_e32 v1, 16, v17
	v_mul_f16_sdwa v2, v10, v1 dst_sel:DWORD dst_unused:UNUSED_PAD src0_sel:WORD_1 src1_sel:DWORD
	v_mul_f16_sdwa v3, v10, v17 dst_sel:DWORD dst_unused:UNUSED_PAD src0_sel:WORD_1 src1_sel:DWORD
	v_fma_f16 v2, v10, v17, v2
	v_fma_f16 v1, v10, v1, -v3
	v_pack_b32_f16 v1, v2, v1
	v_add_u32_e32 v2, 0x800, v36
	ds_write2_b32 v2, v0, v1 offset0:60 offset1:203
	s_waitcnt vmcnt(11)
	v_lshrrev_b32_e32 v0, 16, v18
	v_mul_f16_sdwa v1, v11, v0 dst_sel:DWORD dst_unused:UNUSED_PAD src0_sel:WORD_1 src1_sel:DWORD
	v_mul_f16_sdwa v2, v11, v18 dst_sel:DWORD dst_unused:UNUSED_PAD src0_sel:WORD_1 src1_sel:DWORD
	v_fma_f16 v1, v11, v18, v1
	v_fma_f16 v0, v11, v0, -v2
	v_pack_b32_f16 v0, v1, v0
	s_waitcnt vmcnt(10)
	v_lshrrev_b32_e32 v1, 16, v19
	v_mul_f16_sdwa v2, v12, v1 dst_sel:DWORD dst_unused:UNUSED_PAD src0_sel:WORD_1 src1_sel:DWORD
	v_mul_f16_sdwa v3, v12, v19 dst_sel:DWORD dst_unused:UNUSED_PAD src0_sel:WORD_1 src1_sel:DWORD
	v_fma_f16 v2, v12, v19, v2
	v_fma_f16 v1, v12, v1, -v3
	v_pack_b32_f16 v1, v2, v1
	v_add_u32_e32 v2, 0xc00, v36
	ds_write2_b32 v2, v0, v1 offset0:90 offset1:233
	s_waitcnt vmcnt(9)
	v_lshrrev_b32_e32 v0, 16, v21
	s_waitcnt vmcnt(8)
	v_mul_f16_sdwa v1, v22, v0 dst_sel:DWORD dst_unused:UNUSED_PAD src0_sel:WORD_1 src1_sel:DWORD
	v_mul_f16_sdwa v2, v22, v21 dst_sel:DWORD dst_unused:UNUSED_PAD src0_sel:WORD_1 src1_sel:DWORD
	v_fma_f16 v1, v22, v21, v1
	v_fma_f16 v0, v22, v0, -v2
	v_pack_b32_f16 v0, v1, v0
	s_waitcnt vmcnt(7)
	v_lshrrev_b32_e32 v1, 16, v23
	s_waitcnt vmcnt(6)
	v_mul_f16_sdwa v2, v26, v1 dst_sel:DWORD dst_unused:UNUSED_PAD src0_sel:WORD_1 src1_sel:DWORD
	v_mul_f16_sdwa v3, v26, v23 dst_sel:DWORD dst_unused:UNUSED_PAD src0_sel:WORD_1 src1_sel:DWORD
	v_fma_f16 v2, v26, v23, v2
	v_fma_f16 v1, v26, v1, -v3
	v_pack_b32_f16 v1, v2, v1
	v_add_u32_e32 v2, 0x1100, v36
	ds_write2_b32 v2, v0, v1 offset0:56 offset1:199
	s_waitcnt vmcnt(5)
	v_lshrrev_b32_e32 v0, 16, v27
	s_waitcnt vmcnt(4)
	v_mul_f16_sdwa v1, v28, v0 dst_sel:DWORD dst_unused:UNUSED_PAD src0_sel:WORD_1 src1_sel:DWORD
	v_mul_f16_sdwa v2, v28, v27 dst_sel:DWORD dst_unused:UNUSED_PAD src0_sel:WORD_1 src1_sel:DWORD
	v_fma_f16 v1, v28, v27, v1
	v_fma_f16 v0, v28, v0, -v2
	v_pack_b32_f16 v0, v1, v0
	s_waitcnt vmcnt(3)
	v_lshrrev_b32_e32 v1, 16, v29
	s_waitcnt vmcnt(2)
	v_mul_f16_sdwa v2, v30, v1 dst_sel:DWORD dst_unused:UNUSED_PAD src0_sel:WORD_1 src1_sel:DWORD
	v_mul_f16_sdwa v3, v30, v29 dst_sel:DWORD dst_unused:UNUSED_PAD src0_sel:WORD_1 src1_sel:DWORD
	v_fma_f16 v2, v30, v29, v2
	v_fma_f16 v1, v30, v1, -v3
	v_pack_b32_f16 v1, v2, v1
	v_add_u32_e32 v2, 0x1600, v36
	ds_write2_b32 v2, v0, v1 offset0:22 offset1:165
	s_waitcnt vmcnt(1)
	v_lshrrev_b32_e32 v0, 16, v24
	s_waitcnt vmcnt(0)
	v_mul_f16_sdwa v1, v25, v0 dst_sel:DWORD dst_unused:UNUSED_PAD src0_sel:WORD_1 src1_sel:DWORD
	v_mul_f16_sdwa v2, v25, v24 dst_sel:DWORD dst_unused:UNUSED_PAD src0_sel:WORD_1 src1_sel:DWORD
	v_fma_f16 v1, v25, v24, v1
	v_fma_f16 v0, v25, v0, -v2
	v_pack_b32_f16 v0, v1, v0
	ds_write_b32 v36, v0 offset:6864
.LBB0_3:
	s_or_b64 exec, exec, s[14:15]
	s_load_dwordx2 s[8:9], s[4:5], 0x20
	s_load_dwordx2 s[2:3], s[4:5], 0x8
	s_waitcnt lgkmcnt(0)
	s_barrier
	s_waitcnt lgkmcnt(0)
                                        ; implicit-def: $vgpr0
                                        ; implicit-def: $vgpr3
                                        ; implicit-def: $vgpr16
                                        ; implicit-def: $vgpr8
                                        ; implicit-def: $vgpr21
                                        ; implicit-def: $vgpr22
                                        ; implicit-def: $vgpr10
                                        ; implicit-def: $vgpr23
                                        ; implicit-def: $vgpr25
                                        ; implicit-def: $vgpr13
                                        ; implicit-def: $vgpr26
                                        ; implicit-def: $vgpr12
                                        ; implicit-def: $vgpr5
                                        ; implicit-def: $vgpr14
                                        ; implicit-def: $vgpr17
                                        ; implicit-def: $vgpr7
                                        ; implicit-def: $vgpr18
                                        ; implicit-def: $vgpr19
                                        ; implicit-def: $vgpr15
	s_and_saveexec_b64 s[4:5], s[0:1]
	s_cbranch_execz .LBB0_5
; %bb.4:
	v_add_u32_e32 v2, 0x400, v36
	ds_read2_b32 v[0:1], v36 offset1:143
	v_add_u32_e32 v3, 0x800, v36
	ds_read2_b32 v[6:7], v2 offset0:30 offset1:173
	ds_read2_b32 v[4:5], v3 offset0:60 offset1:203
	v_add_u32_e32 v2, 0xc00, v36
	v_add_u32_e32 v8, 0x1100, v36
	;; [unrolled: 1-line block ×3, first 2 shown]
	ds_read2_b32 v[2:3], v2 offset0:90 offset1:233
	ds_read2_b32 v[8:9], v8 offset0:56 offset1:199
	;; [unrolled: 1-line block ×3, first 2 shown]
	ds_read_b32 v13, v36 offset:6864
	s_waitcnt lgkmcnt(6)
	v_lshrrev_b32_e32 v15, 16, v1
	s_waitcnt lgkmcnt(5)
	v_lshrrev_b32_e32 v19, 16, v6
	v_lshrrev_b32_e32 v18, 16, v7
	s_waitcnt lgkmcnt(4)
	v_lshrrev_b32_e32 v17, 16, v4
	;; [unrolled: 3-line block ×6, first 2 shown]
.LBB0_5:
	s_or_b64 exec, exec, s[4:5]
	v_sub_f16_e32 v54, v15, v26
	v_add_f16_e32 v27, v13, v1
	s_movk_i32 s10, 0x3b15
	v_mul_f16_e32 v44, 0xb770, v54
	v_sub_f16_e32 v57, v19, v25
	v_sub_f16_e32 v58, v1, v13
	v_fma_f16 v24, v27, s10, v44
	s_movk_i32 s11, 0x388b
	v_add_f16_e32 v29, v11, v6
	v_mul_f16_e32 v45, 0xba95, v57
	v_add_f16_e32 v28, v26, v15
	v_add_f16_e32 v24, v24, v0
	v_fma_f16 v30, v29, s11, v45
	v_mul_f16_e32 v47, 0xb770, v58
	v_add_f16_e32 v24, v30, v24
	v_fma_f16 v30, v28, s10, -v47
	v_sub_f16_e32 v66, v6, v11
	v_add_f16_sdwa v31, v30, v0 dst_sel:DWORD dst_unused:UNUSED_PAD src0_sel:DWORD src1_sel:WORD_1
	v_add_f16_e32 v30, v25, v19
	v_mul_f16_e32 v48, 0xba95, v66
	v_fma_f16 v32, v30, s11, -v48
	v_mul_f16_e32 v51, 0xba95, v54
	v_add_f16_e32 v32, v32, v31
	v_fma_f16 v31, v27, s11, v51
	s_mov_b32 s14, 0xb5ac
	v_mul_f16_e32 v52, 0xbb7b, v57
	v_add_f16_e32 v31, v31, v0
	v_fma_f16 v33, v29, s14, v52
	v_mul_f16_e32 v60, 0xba95, v58
	v_add_f16_e32 v34, v33, v31
	v_fma_f16 v31, v28, s11, -v60
	v_mul_f16_e32 v61, 0xbb7b, v66
	v_add_f16_sdwa v31, v31, v0 dst_sel:DWORD dst_unused:UNUSED_PAD src0_sel:DWORD src1_sel:WORD_1
	v_fma_f16 v33, v30, s14, -v61
	v_sub_f16_e32 v67, v18, v23
	v_add_f16_e32 v35, v33, v31
	s_movk_i32 s15, 0x2fb7
	v_add_f16_e32 v31, v10, v7
	v_mul_f16_e32 v49, 0xbbf1, v67
	v_fma_f16 v33, v31, s15, v49
	v_sub_f16_e32 v72, v7, v10
	v_add_f16_e32 v24, v33, v24
	v_add_f16_e32 v33, v23, v18
	v_mul_f16_e32 v53, 0xbbf1, v72
	v_fma_f16 v38, v33, s15, -v53
	s_mov_b32 s16, 0xbbc4
	v_mul_f16_e32 v59, 0xb3a8, v67
	v_add_f16_e32 v38, v38, v32
	v_fma_f16 v32, v31, s16, v59
	v_mul_f16_e32 v65, 0xb3a8, v72
	v_add_f16_e32 v34, v32, v34
	v_fma_f16 v32, v33, s16, -v65
	v_sub_f16_e32 v71, v17, v22
	v_add_f16_e32 v35, v32, v35
	v_add_f16_e32 v32, v9, v4
	v_mul_f16_e32 v50, 0xbb7b, v71
	v_fma_f16 v39, v32, s14, v50
	v_sub_f16_e32 v76, v4, v9
	v_add_f16_e32 v24, v39, v24
	v_add_f16_e32 v39, v22, v17
	v_mul_f16_e32 v56, 0xbb7b, v76
	v_fma_f16 v40, v39, s14, -v56
	s_mov_b32 s17, 0xb9fd
	v_mul_f16_e32 v64, 0x394e, v71
	v_add_f16_e32 v38, v40, v38
	v_fma_f16 v40, v32, s17, v64
	v_mul_f16_e32 v70, 0x394e, v76
	v_add_f16_e32 v40, v40, v34
	v_fma_f16 v34, v39, s17, -v70
	v_sub_f16_e32 v75, v14, v21
	v_add_f16_e32 v35, v34, v35
	v_add_f16_e32 v34, v8, v5
	v_mul_f16_e32 v55, 0xb94e, v75
	v_sub_f16_e32 v79, v5, v8
	v_fma_f16 v41, v34, s17, v55
	v_add_f16_e32 v43, v21, v14
	v_mul_f16_e32 v63, 0xb94e, v79
	v_add_f16_e32 v24, v41, v24
	v_fma_f16 v41, v43, s17, -v63
	v_mul_f16_e32 v69, 0x3bf1, v75
	v_add_f16_e32 v38, v41, v38
	v_fma_f16 v41, v34, s15, v69
	v_mul_f16_e32 v73, 0x3bf1, v79
	v_sub_f16_e32 v78, v12, v16
	v_add_f16_e32 v81, v41, v40
	v_fma_f16 v40, v43, s15, -v73
	v_add_f16_e32 v42, v3, v2
	v_mul_f16_e32 v62, 0xb3a8, v78
	v_sub_f16_e32 v80, v2, v3
	v_add_f16_e32 v41, v40, v35
	v_fma_f16 v35, v42, s16, v62
	v_add_f16_e32 v46, v16, v12
	v_mul_f16_e32 v68, 0xb3a8, v80
	v_add_f16_e32 v35, v35, v24
	v_fma_f16 v24, v46, s16, -v68
	v_mul_f16_e32 v77, 0x3770, v80
	v_add_f16_e32 v40, v24, v38
	v_fma_f16 v24, v46, s10, -v77
	v_mul_f16_e32 v74, 0x3770, v78
	v_add_f16_e32 v41, v24, v41
	v_fma_f16 v24, v42, s10, v74
	v_add_f16_e32 v24, v24, v81
	v_mul_lo_u16_e32 v38, 13, v37
	s_barrier
	s_and_saveexec_b64 s[4:5], s[0:1]
	s_cbranch_execz .LBB0_7
; %bb.6:
	v_mul_f16_e32 v81, 0xb3a8, v58
	v_fma_f16 v82, v28, s16, v81
	v_mul_f16_e32 v83, 0x3770, v66
	v_add_f16_sdwa v82, v82, v0 dst_sel:DWORD dst_unused:UNUSED_PAD src0_sel:DWORD src1_sel:WORD_1
	v_fma_f16 v84, v30, s10, v83
	v_add_f16_e32 v82, v84, v82
	v_mul_f16_e32 v84, 0xb94e, v72
	v_fma_f16 v85, v33, s17, v84
	v_add_f16_e32 v82, v85, v82
	v_mul_f16_e32 v85, 0x3a95, v76
	;; [unrolled: 3-line block ×5, first 2 shown]
	v_fma_f16 v89, v27, s16, -v88
	v_mul_f16_e32 v90, 0x3770, v57
	v_add_f16_e32 v89, v89, v0
	v_fma_f16 v91, v29, s10, -v90
	v_add_f16_e32 v89, v91, v89
	v_mul_f16_e32 v91, 0xb94e, v67
	v_fma_f16 v92, v31, s17, -v91
	v_add_f16_e32 v89, v92, v89
	v_mul_f16_e32 v92, 0x3a95, v71
	;; [unrolled: 3-line block ×5, first 2 shown]
	v_fma_f16 v96, v28, s17, v95
	v_mul_f16_e32 v97, 0x3bf1, v66
	v_add_f16_sdwa v96, v96, v0 dst_sel:DWORD dst_unused:UNUSED_PAD src0_sel:DWORD src1_sel:WORD_1
	v_fma_f16 v98, v30, s15, v97
	v_add_f16_e32 v96, v98, v96
	v_mul_f16_e32 v98, 0xba95, v72
	v_fma_f16 v99, v33, s11, v98
	v_add_f16_e32 v96, v99, v96
	v_mul_f16_e32 v99, 0x33a8, v76
	;; [unrolled: 3-line block ×5, first 2 shown]
	v_fma_f16 v103, v27, s17, -v102
	v_mul_f16_e32 v104, 0x3bf1, v57
	v_add_f16_e32 v103, v103, v0
	v_fma_f16 v105, v29, s15, -v104
	v_add_f16_e32 v103, v105, v103
	v_mul_f16_e32 v105, 0xba95, v67
	v_fma_f16 v106, v31, s11, -v105
	v_add_f16_e32 v103, v106, v103
	v_mul_f16_e32 v106, 0x33a8, v71
	;; [unrolled: 3-line block ×5, first 2 shown]
	v_fma_f16 v110, v28, s14, v109
	v_mul_f16_e32 v111, 0x394e, v66
	v_add_f16_sdwa v110, v110, v0 dst_sel:DWORD dst_unused:UNUSED_PAD src0_sel:DWORD src1_sel:WORD_1
	v_fma_f16 v112, v30, s17, v111
	v_add_f16_e32 v110, v112, v110
	v_mul_f16_e32 v112, 0x3770, v72
	v_fma_f16 v113, v33, s10, v112
	v_add_f16_e32 v110, v113, v110
	v_mul_f16_e32 v113, 0xbbf1, v76
	;; [unrolled: 3-line block ×5, first 2 shown]
	v_fma_f16 v117, v27, s14, -v116
	v_mul_f16_e32 v118, 0x394e, v57
	v_add_f16_e32 v117, v117, v0
	v_fma_f16 v119, v29, s17, -v118
	v_add_f16_e32 v117, v119, v117
	v_mul_f16_e32 v119, 0x3770, v67
	v_fma_f16 v120, v31, s10, -v119
	v_add_f16_e32 v117, v120, v117
	v_mul_f16_e32 v120, 0xbbf1, v71
	;; [unrolled: 3-line block ×4, first 2 shown]
	v_fma_f16 v123, v42, s11, -v122
	v_mul_f16_e32 v58, 0xbbf1, v58
	v_add_f16_e32 v117, v123, v117
	v_fma_f16 v123, v28, s15, v58
	v_mul_f16_e32 v66, 0xb3a8, v66
	v_add_f16_sdwa v123, v123, v0 dst_sel:DWORD dst_unused:UNUSED_PAD src0_sel:DWORD src1_sel:WORD_1
	v_fma_f16 v124, v30, s16, v66
	v_mul_f16_e32 v72, 0x3b7b, v72
	v_add_f16_e32 v123, v124, v123
	v_fma_f16 v124, v33, s14, v72
	v_mul_f16_e32 v76, 0x3770, v76
	v_add_f16_e32 v123, v124, v123
	;; [unrolled: 3-line block ×5, first 2 shown]
	v_fma_f16 v124, v27, s15, -v54
	v_mul_f16_e32 v57, 0xb3a8, v57
	v_add_f16_e32 v124, v124, v0
	v_fma_f16 v125, v29, s16, -v57
	v_mul_f16_e32 v67, 0x3b7b, v67
	v_add_f16_e32 v124, v125, v124
	;; [unrolled: 3-line block ×5, first 2 shown]
	v_fma_f16 v125, v42, s17, -v78
	v_add_f16_e32 v124, v125, v124
	v_mul_f16_e32 v125, 0x388b, v28
	v_add_f16_e32 v60, v60, v125
	v_mul_f16_e32 v125, 0xb5ac, v30
	v_add_f16_e32 v61, v61, v125
	v_add_f16_sdwa v60, v60, v0 dst_sel:DWORD dst_unused:UNUSED_PAD src0_sel:DWORD src1_sel:WORD_1
	v_add_f16_e32 v60, v61, v60
	v_mul_f16_e32 v61, 0xbbc4, v33
	v_add_f16_e32 v61, v65, v61
	v_add_f16_e32 v60, v61, v60
	v_mul_f16_e32 v61, 0xb9fd, v39
	v_add_f16_e32 v61, v70, v61
	;; [unrolled: 3-line block ×4, first 2 shown]
	v_add_f16_e32 v60, v61, v60
	v_mul_f16_e32 v61, 0x388b, v27
	v_sub_f16_e32 v51, v61, v51
	v_mul_f16_e32 v61, 0xb5ac, v29
	v_sub_f16_e32 v52, v61, v52
	v_add_f16_e32 v51, v51, v0
	v_add_f16_e32 v51, v52, v51
	v_mul_f16_e32 v52, 0xbbc4, v31
	v_sub_f16_e32 v52, v52, v59
	v_add_f16_e32 v51, v52, v51
	v_mul_f16_e32 v52, 0xb9fd, v32
	v_sub_f16_e32 v52, v52, v64
	v_add_f16_e32 v51, v52, v51
	v_mul_f16_e32 v52, 0x2fb7, v34
	v_sub_f16_e32 v52, v52, v69
	v_add_f16_e32 v51, v52, v51
	v_mul_f16_e32 v52, 0x3b15, v42
	v_sub_f16_e32 v52, v52, v74
	v_add_f16_e32 v51, v52, v51
	v_mul_f16_e32 v52, 0x3b15, v28
	v_add_f16_e32 v47, v47, v52
	v_mul_f16_e32 v52, 0x388b, v30
	v_add_f16_e32 v48, v48, v52
	v_add_f16_sdwa v47, v47, v0 dst_sel:DWORD dst_unused:UNUSED_PAD src0_sel:DWORD src1_sel:WORD_1
	v_add_f16_e32 v47, v48, v47
	v_mul_f16_e32 v48, 0x2fb7, v33
	v_add_f16_e32 v48, v53, v48
	v_add_f16_e32 v47, v48, v47
	v_mul_f16_e32 v48, 0xb5ac, v39
	v_add_f16_e32 v48, v56, v48
	;; [unrolled: 3-line block ×4, first 2 shown]
	v_add_f16_e32 v47, v48, v47
	v_mul_f16_e32 v48, 0x3b15, v27
	v_sub_f16_e32 v44, v48, v44
	v_mul_f16_e32 v48, 0x388b, v29
	v_sub_f16_e32 v45, v48, v45
	v_add_f16_e32 v44, v44, v0
	v_add_f16_e32 v44, v45, v44
	v_mul_f16_e32 v45, 0x2fb7, v31
	v_sub_f16_e32 v45, v45, v49
	v_add_f16_e32 v44, v45, v44
	v_mul_f16_e32 v45, 0xb5ac, v32
	v_sub_f16_e32 v45, v45, v50
	;; [unrolled: 3-line block ×4, first 2 shown]
	v_add_f16_e32 v44, v45, v44
	v_fma_f16 v45, v28, s16, -v81
	v_add_f16_sdwa v45, v45, v0 dst_sel:DWORD dst_unused:UNUSED_PAD src0_sel:DWORD src1_sel:WORD_1
	v_fma_f16 v48, v30, s10, -v83
	v_add_f16_e32 v45, v48, v45
	v_fma_f16 v48, v33, s17, -v84
	v_add_f16_e32 v45, v48, v45
	;; [unrolled: 2-line block ×5, first 2 shown]
	v_fma_f16 v48, v27, s16, v88
	v_add_f16_e32 v48, v48, v0
	v_fma_f16 v49, v29, s10, v90
	v_add_f16_e32 v48, v49, v48
	v_fma_f16 v49, v31, s17, v91
	v_add_f16_e32 v48, v49, v48
	v_fma_f16 v49, v32, s11, v92
	v_add_f16_e32 v48, v49, v48
	v_fma_f16 v49, v34, s14, v93
	v_add_f16_e32 v48, v49, v48
	v_fma_f16 v49, v42, s15, v94
	v_add_f16_e32 v48, v49, v48
	v_fma_f16 v49, v28, s17, -v95
	v_add_f16_sdwa v49, v49, v0 dst_sel:DWORD dst_unused:UNUSED_PAD src0_sel:DWORD src1_sel:WORD_1
	v_fma_f16 v50, v30, s15, -v97
	v_add_f16_e32 v49, v50, v49
	v_fma_f16 v50, v33, s11, -v98
	v_add_f16_e32 v49, v50, v49
	v_fma_f16 v50, v39, s16, -v99
	v_add_f16_e32 v49, v50, v49
	v_fma_f16 v50, v43, s10, -v100
	v_add_f16_e32 v49, v50, v49
	v_fma_f16 v50, v46, s14, -v101
	v_add_f16_e32 v49, v50, v49
	v_fma_f16 v50, v27, s17, v102
	v_add_f16_e32 v50, v50, v0
	v_fma_f16 v52, v29, s15, v104
	v_add_f16_e32 v50, v52, v50
	;; [unrolled: 2-line block ×6, first 2 shown]
	v_fma_f16 v52, v28, s14, -v109
	v_add_f16_sdwa v52, v52, v0 dst_sel:DWORD dst_unused:UNUSED_PAD src0_sel:DWORD src1_sel:WORD_1
	v_fma_f16 v53, v30, s17, -v111
	v_add_f16_e32 v52, v53, v52
	v_fma_f16 v53, v33, s10, -v112
	v_add_f16_e32 v52, v53, v52
	;; [unrolled: 2-line block ×5, first 2 shown]
	v_fma_f16 v53, v27, s14, v116
	v_fma_f16 v28, v28, s15, -v58
	v_fma_f16 v27, v27, s15, v54
	v_add_f16_e32 v53, v53, v0
	v_add_f16_sdwa v28, v28, v0 dst_sel:DWORD dst_unused:UNUSED_PAD src0_sel:DWORD src1_sel:WORD_1
	v_add_f16_e32 v27, v27, v0
	v_add_f16_sdwa v15, v15, v0 dst_sel:DWORD dst_unused:UNUSED_PAD src0_sel:DWORD src1_sel:WORD_1
	v_add_f16_e32 v0, v1, v0
	v_add_f16_e32 v15, v19, v15
	;; [unrolled: 1-line block ×21, first 2 shown]
	v_fma_f16 v55, v29, s17, v118
	v_fma_f16 v30, v30, s16, -v66
	v_fma_f16 v29, v29, s16, v57
	v_add_f16_sdwa v12, v26, v12 dst_sel:WORD_1 dst_unused:UNUSED_PAD src0_sel:DWORD src1_sel:DWORD
	v_add_f16_e32 v0, v13, v0
	v_add_f16_e32 v53, v55, v53
	v_fma_f16 v55, v31, s10, v119
	v_add_f16_e32 v28, v30, v28
	v_fma_f16 v30, v33, s14, -v72
	v_add_f16_e32 v27, v29, v27
	v_fma_f16 v29, v31, s14, v67
	v_or_b32_e32 v0, v12, v0
	v_lshlrev_b32_e32 v1, 2, v38
	v_add_f16_e32 v53, v55, v53
	v_fma_f16 v55, v32, s15, v120
	v_add_f16_e32 v28, v30, v28
	v_fma_f16 v30, v39, s10, -v76
	v_add_f16_e32 v27, v29, v27
	v_fma_f16 v29, v32, s10, v71
	ds_write_b32 v1, v0
	v_pack_b32_f16 v0, v51, v60
	v_pack_b32_f16 v2, v44, v47
	v_add_f16_e32 v53, v55, v53
	v_fma_f16 v55, v34, s16, v121
	v_add_f16_e32 v28, v30, v28
	v_fma_f16 v30, v43, s11, -v79
	v_add_f16_e32 v27, v29, v27
	v_fma_f16 v29, v34, s11, v75
	ds_write2_b32 v1, v2, v0 offset0:1 offset1:2
	v_pack_b32_f16 v0, v117, v110
	v_pack_b32_f16 v2, v124, v123
	v_add_f16_e32 v53, v55, v53
	v_fma_f16 v55, v42, s11, v122
	v_add_f16_e32 v28, v30, v28
	v_fma_f16 v30, v46, s17, -v80
	v_add_f16_e32 v27, v29, v27
	v_fma_f16 v29, v42, s17, v78
	ds_write2_b32 v1, v2, v0 offset0:3 offset1:4
	v_pack_b32_f16 v0, v89, v82
	v_pack_b32_f16 v2, v103, v96
	v_add_f16_e32 v53, v55, v53
	v_add_f16_e32 v28, v30, v28
	;; [unrolled: 1-line block ×3, first 2 shown]
	ds_write2_b32 v1, v2, v0 offset0:5 offset1:6
	v_pack_b32_f16 v0, v50, v49
	v_pack_b32_f16 v2, v48, v45
	ds_write2_b32 v1, v2, v0 offset0:7 offset1:8
	v_pack_b32_f16 v0, v27, v28
	v_pack_b32_f16 v2, v53, v52
	s_mov_b32 s10, 0x5040100
	ds_write2_b32 v1, v2, v0 offset0:9 offset1:10
	v_perm_b32 v0, v40, v35, s10
	v_perm_b32 v2, v41, v24, s10
	ds_write2_b32 v1, v2, v0 offset0:11 offset1:12
.LBB0_7:
	s_or_b64 exec, exec, s[4:5]
	s_movk_i32 s4, 0x4f
	v_mul_lo_u16_sdwa v0, v37, s4 dst_sel:DWORD dst_unused:UNUSED_PAD src0_sel:BYTE_0 src1_sel:DWORD
	v_lshrrev_b16_e32 v19, 10, v0
	v_mul_lo_u16_e32 v0, 13, v19
	v_sub_u16_e32 v0, v37, v0
	v_and_b32_e32 v39, 0xff, v0
	v_mul_u32_u24_e32 v0, 10, v39
	v_lshlrev_b32_e32 v8, 2, v0
	s_load_dwordx4 s[8:11], s[8:9], 0x0
	s_waitcnt lgkmcnt(0)
	s_barrier
	global_load_dwordx4 v[0:3], v8, s[2:3]
	global_load_dwordx4 v[4:7], v8, s[2:3] offset:16
	global_load_dwordx2 v[21:22], v8, s[2:3] offset:32
	ds_read2_b32 v[9:10], v36 offset1:169
	v_add_u32_e32 v13, 0xa00, v36
	v_add_u32_e32 v15, 0xf00, v36
	;; [unrolled: 1-line block ×4, first 2 shown]
	ds_read_b32 v23, v36 offset:6760
	ds_read2_b32 v[11:12], v8 offset0:82 offset1:251
	ds_read2_b32 v[13:14], v13 offset0:36 offset1:205
	;; [unrolled: 1-line block ×4, first 2 shown]
	s_waitcnt lgkmcnt(5)
	v_lshrrev_b32_e32 v25, 16, v10
	s_waitcnt lgkmcnt(3)
	v_lshrrev_b32_e32 v27, 16, v11
	v_lshrrev_b32_e32 v26, 16, v23
	;; [unrolled: 1-line block ×3, first 2 shown]
	s_waitcnt lgkmcnt(2)
	v_lshrrev_b32_e32 v29, 16, v13
	v_lshrrev_b32_e32 v30, 16, v14
	s_waitcnt lgkmcnt(1)
	v_lshrrev_b32_e32 v31, 16, v15
	v_lshrrev_b32_e32 v32, 16, v16
	;; [unrolled: 3-line block ×3, first 2 shown]
	s_movk_i32 s14, 0x3abb
	s_movk_i32 s4, 0x36a6
	s_mov_b32 s5, 0xb08e
	s_mov_b32 s15, 0xb93d
	s_mov_b32 s16, 0xbbad
	s_waitcnt vmcnt(0)
	s_barrier
	v_mul_f16_sdwa v42, v25, v0 dst_sel:DWORD dst_unused:UNUSED_PAD src0_sel:DWORD src1_sel:WORD_1
	v_mul_f16_sdwa v43, v10, v0 dst_sel:DWORD dst_unused:UNUSED_PAD src0_sel:DWORD src1_sel:WORD_1
	;; [unrolled: 1-line block ×5, first 2 shown]
	v_fma_f16 v10, v10, v0, -v42
	v_fma_f16 v25, v25, v0, v43
	v_mul_f16_sdwa v46, v28, v2 dst_sel:DWORD dst_unused:UNUSED_PAD src0_sel:DWORD src1_sel:WORD_1
	v_mul_f16_sdwa v47, v12, v2 dst_sel:DWORD dst_unused:UNUSED_PAD src0_sel:DWORD src1_sel:WORD_1
	;; [unrolled: 1-line block ×3, first 2 shown]
	v_fma_f16 v11, v11, v1, -v44
	v_fma_f16 v27, v27, v1, v45
	v_fma_f16 v26, v26, v22, v61
	v_add_f16_e32 v42, v10, v9
	v_add_f16_sdwa v43, v25, v9 dst_sel:DWORD dst_unused:UNUSED_PAD src0_sel:DWORD src1_sel:WORD_1
	v_mul_f16_sdwa v48, v29, v3 dst_sel:DWORD dst_unused:UNUSED_PAD src0_sel:DWORD src1_sel:WORD_1
	v_mul_f16_sdwa v49, v13, v3 dst_sel:DWORD dst_unused:UNUSED_PAD src0_sel:DWORD src1_sel:WORD_1
	v_fma_f16 v12, v12, v2, -v46
	v_fma_f16 v28, v28, v2, v47
	v_add_f16_e32 v45, v25, v26
	v_sub_f16_e32 v46, v25, v26
	v_add_f16_e32 v25, v42, v11
	v_add_f16_e32 v42, v43, v27
	v_mul_f16_sdwa v50, v30, v4 dst_sel:DWORD dst_unused:UNUSED_PAD src0_sel:DWORD src1_sel:WORD_1
	v_mul_f16_sdwa v51, v14, v4 dst_sel:DWORD dst_unused:UNUSED_PAD src0_sel:DWORD src1_sel:WORD_1
	v_fma_f16 v13, v13, v3, -v48
	v_fma_f16 v29, v29, v3, v49
	v_add_f16_e32 v25, v25, v12
	v_add_f16_e32 v42, v42, v28
	v_mul_f16_sdwa v52, v31, v5 dst_sel:DWORD dst_unused:UNUSED_PAD src0_sel:DWORD src1_sel:WORD_1
	v_mul_f16_sdwa v53, v15, v5 dst_sel:DWORD dst_unused:UNUSED_PAD src0_sel:DWORD src1_sel:WORD_1
	v_fma_f16 v14, v14, v4, -v50
	v_fma_f16 v30, v30, v4, v51
	v_add_f16_e32 v25, v25, v13
	v_add_f16_e32 v42, v42, v29
	v_mul_f16_sdwa v54, v32, v6 dst_sel:DWORD dst_unused:UNUSED_PAD src0_sel:DWORD src1_sel:WORD_1
	v_mul_f16_sdwa v55, v16, v6 dst_sel:DWORD dst_unused:UNUSED_PAD src0_sel:DWORD src1_sel:WORD_1
	v_fma_f16 v15, v15, v5, -v52
	v_fma_f16 v31, v31, v5, v53
	v_add_f16_e32 v25, v25, v14
	v_add_f16_e32 v42, v42, v30
	v_mul_f16_sdwa v56, v33, v7 dst_sel:DWORD dst_unused:UNUSED_PAD src0_sel:DWORD src1_sel:WORD_1
	v_mul_f16_sdwa v57, v17, v7 dst_sel:DWORD dst_unused:UNUSED_PAD src0_sel:DWORD src1_sel:WORD_1
	v_fma_f16 v16, v16, v6, -v54
	v_fma_f16 v32, v32, v6, v55
	v_add_f16_e32 v25, v25, v15
	v_add_f16_e32 v42, v42, v31
	v_mul_f16_sdwa v58, v34, v21 dst_sel:DWORD dst_unused:UNUSED_PAD src0_sel:DWORD src1_sel:WORD_1
	v_mul_f16_sdwa v59, v18, v21 dst_sel:DWORD dst_unused:UNUSED_PAD src0_sel:DWORD src1_sel:WORD_1
	v_fma_f16 v17, v17, v7, -v56
	v_fma_f16 v33, v33, v7, v57
	v_add_f16_e32 v25, v25, v16
	v_add_f16_e32 v42, v42, v32
	v_fma_f16 v18, v18, v21, -v58
	v_fma_f16 v34, v34, v21, v59
	v_fma_f16 v23, v23, v22, -v60
	v_add_f16_e32 v25, v25, v17
	v_add_f16_e32 v42, v42, v33
	v_add_f16_e32 v44, v10, v23
	v_sub_f16_e32 v10, v10, v23
	v_add_f16_e32 v25, v25, v18
	v_add_f16_e32 v42, v42, v34
	v_mul_f16_e32 v43, 0xb853, v46
	v_add_f16_e32 v23, v25, v23
	v_add_f16_sdwa v25, v42, v26 dst_sel:WORD_1 dst_unused:UNUSED_PAD src0_sel:DWORD src1_sel:DWORD
	v_mul_f16_e32 v26, 0xb853, v10
	v_mul_f16_e32 v47, 0xbb47, v46
	;; [unrolled: 1-line block ×9, first 2 shown]
	v_or_b32_e32 v25, v25, v23
	v_fma_f16 v23, v44, s14, -v43
	v_fma_f16 v42, v45, s14, v26
	v_fma_f16 v43, v44, s14, v43
	v_fma_f16 v26, v45, s14, -v26
	v_fma_f16 v48, v44, s4, -v47
	v_fma_f16 v50, v45, s4, v49
	v_fma_f16 v47, v44, s4, v47
	v_fma_f16 v49, v45, s4, -v49
	;; [unrolled: 4-line block ×5, first 2 shown]
	v_add_f16_e32 v23, v23, v9
	v_add_f16_sdwa v42, v42, v9 dst_sel:DWORD dst_unused:UNUSED_PAD src0_sel:DWORD src1_sel:WORD_1
	v_add_f16_e32 v43, v43, v9
	v_add_f16_sdwa v26, v26, v9 dst_sel:DWORD dst_unused:UNUSED_PAD src0_sel:DWORD src1_sel:WORD_1
	;; [unrolled: 2-line block ×10, first 2 shown]
	v_add_f16_e32 v10, v11, v18
	v_sub_f16_e32 v11, v11, v18
	v_sub_f16_e32 v18, v27, v34
	v_add_f16_e32 v45, v27, v34
	v_mul_f16_e32 v27, 0xbb47, v18
	v_fma_f16 v34, v10, s4, -v27
	v_add_f16_e32 v23, v34, v23
	v_mul_f16_e32 v34, 0xbb47, v11
	v_fma_f16 v46, v45, s4, v34
	v_fma_f16 v34, v45, s4, -v34
	v_fma_f16 v27, v10, s4, v27
	v_add_f16_e32 v26, v34, v26
	v_mul_f16_e32 v34, 0xba0c, v18
	v_add_f16_e32 v42, v46, v42
	v_add_f16_e32 v27, v27, v43
	v_fma_f16 v43, v10, s15, -v34
	v_mul_f16_e32 v46, 0xba0c, v11
	v_fma_f16 v34, v10, s15, v34
	v_add_f16_e32 v43, v43, v48
	v_fma_f16 v48, v45, s15, v46
	v_add_f16_e32 v34, v34, v47
	v_fma_f16 v46, v45, s15, -v46
	v_mul_f16_e32 v47, 0x3482, v18
	v_add_f16_e32 v48, v48, v50
	v_add_f16_e32 v46, v46, v49
	v_fma_f16 v49, v10, s16, -v47
	v_mul_f16_e32 v50, 0x3482, v11
	v_fma_f16 v47, v10, s16, v47
	v_add_f16_e32 v49, v49, v52
	v_fma_f16 v52, v45, s16, v50
	v_add_f16_e32 v47, v47, v51
	v_fma_f16 v50, v45, s16, -v50
	v_mul_f16_e32 v51, 0x3beb, v18
	v_add_f16_e32 v52, v52, v54
	v_add_f16_e32 v50, v50, v53
	v_fma_f16 v53, v10, s5, -v51
	v_mul_f16_e32 v54, 0x3beb, v11
	v_add_f16_e32 v53, v53, v56
	v_fma_f16 v56, v45, s5, v54
	v_fma_f16 v54, v45, s5, -v54
	v_mul_f16_e32 v11, 0x3853, v11
	v_add_f16_e32 v54, v54, v57
	v_fma_f16 v57, v45, s14, v11
	v_fma_f16 v11, v45, s14, -v11
	v_fma_f16 v51, v10, s5, v51
	v_mul_f16_e32 v18, 0x3853, v18
	v_add_f16_e32 v9, v11, v9
	v_add_f16_e32 v11, v12, v17
	v_sub_f16_e32 v12, v12, v17
	v_sub_f16_e32 v17, v28, v33
	v_add_f16_e32 v51, v51, v55
	v_fma_f16 v55, v10, s14, -v18
	v_fma_f16 v10, v10, s14, v18
	v_add_f16_e32 v18, v28, v33
	v_mul_f16_e32 v28, 0xbbeb, v17
	v_fma_f16 v33, v11, s5, -v28
	v_add_f16_e32 v23, v33, v23
	v_mul_f16_e32 v33, 0xbbeb, v12
	v_fma_f16 v28, v11, s5, v28
	v_add_f16_e32 v27, v28, v27
	v_fma_f16 v28, v18, s5, -v33
	v_add_f16_e32 v26, v28, v26
	v_mul_f16_e32 v28, 0x3482, v17
	v_add_f16_e32 v10, v10, v44
	v_fma_f16 v44, v18, s5, v33
	v_fma_f16 v33, v11, s16, -v28
	v_add_f16_e32 v33, v33, v43
	v_mul_f16_e32 v43, 0x3482, v12
	v_fma_f16 v28, v11, s16, v28
	v_add_f16_e32 v42, v44, v42
	v_fma_f16 v44, v18, s16, v43
	v_add_f16_e32 v28, v28, v34
	v_fma_f16 v34, v18, s16, -v43
	v_mul_f16_e32 v43, 0x3b47, v17
	v_fma_f16 v45, v11, s4, -v43
	v_fma_f16 v43, v11, s4, v43
	v_add_f16_e32 v34, v34, v46
	v_mul_f16_e32 v46, 0x3b47, v12
	v_add_f16_e32 v43, v43, v47
	v_mul_f16_e32 v47, 0xb853, v17
	v_add_f16_e32 v44, v44, v48
	v_add_f16_e32 v45, v45, v49
	v_fma_f16 v48, v18, s4, v46
	v_fma_f16 v46, v18, s4, -v46
	v_fma_f16 v49, v11, s14, -v47
	v_fma_f16 v47, v11, s14, v47
	v_mul_f16_e32 v17, 0xba0c, v17
	v_add_f16_e32 v46, v46, v50
	v_mul_f16_e32 v50, 0xb853, v12
	v_add_f16_e32 v47, v47, v51
	v_fma_f16 v51, v11, s15, -v17
	v_mul_f16_e32 v12, 0xba0c, v12
	v_fma_f16 v11, v11, s15, v17
	v_add_f16_e32 v10, v11, v10
	v_fma_f16 v11, v18, s15, -v12
	v_add_f16_e32 v9, v11, v9
	v_add_f16_e32 v11, v13, v16
	v_sub_f16_e32 v13, v13, v16
	v_sub_f16_e32 v16, v29, v32
	v_mul_f16_e32 v17, 0xba0c, v16
	v_add_f16_e32 v48, v48, v52
	v_add_f16_e32 v49, v49, v53
	v_fma_f16 v52, v18, s14, v50
	v_fma_f16 v50, v18, s14, -v50
	v_fma_f16 v53, v18, s15, v12
	v_fma_f16 v18, v11, s15, -v17
	v_add_f16_e32 v12, v29, v32
	v_add_f16_e32 v18, v18, v23
	v_mul_f16_e32 v23, 0xba0c, v13
	v_fma_f16 v29, v12, s15, v23
	v_fma_f16 v17, v11, s15, v17
	v_fma_f16 v23, v12, s15, -v23
	v_add_f16_e32 v17, v17, v27
	v_add_f16_e32 v27, v23, v26
	v_mul_f16_e32 v23, 0x3beb, v16
	v_fma_f16 v26, v11, s5, -v23
	v_add_f16_e32 v32, v26, v33
	v_mul_f16_e32 v26, 0x3beb, v13
	v_fma_f16 v23, v11, s5, v23
	v_add_f16_e32 v28, v23, v28
	v_fma_f16 v23, v12, s5, -v26
	v_add_f16_e32 v34, v23, v34
	v_mul_f16_e32 v23, 0xb853, v16
	v_fma_f16 v33, v12, s5, v26
	v_fma_f16 v26, v11, s14, -v23
	v_add_f16_e32 v45, v26, v45
	v_mul_f16_e32 v26, 0xb853, v13
	v_fma_f16 v23, v11, s14, v23
	v_add_f16_e32 v50, v50, v54
	v_add_f16_e32 v54, v23, v43
	v_fma_f16 v23, v12, s14, -v26
	v_add_f16_e32 v46, v23, v46
	v_mul_f16_e32 v23, 0xb482, v16
	v_add_f16_e32 v55, v55, v59
	v_add_f16_e32 v29, v29, v42
	v_fma_f16 v42, v12, s14, v26
	v_fma_f16 v26, v11, s16, -v23
	v_add_f16_e32 v56, v56, v58
	v_add_f16_e32 v51, v51, v55
	;; [unrolled: 1-line block ×3, first 2 shown]
	v_mul_f16_e32 v26, 0xb482, v13
	v_fma_f16 v23, v11, s16, v23
	v_add_f16_e32 v52, v52, v56
	v_add_f16_e32 v56, v23, v47
	v_fma_f16 v23, v12, s16, -v26
	v_mul_f16_e32 v16, 0x3b47, v16
	v_add_f16_e32 v50, v23, v50
	v_fma_f16 v23, v11, s4, -v16
	v_mul_f16_e32 v13, 0x3b47, v13
	v_fma_f16 v11, v11, s4, v16
	v_add_f16_e32 v57, v57, v60
	v_add_f16_e32 v10, v11, v10
	v_fma_f16 v11, v12, s4, -v13
	v_add_f16_e32 v53, v53, v57
	v_add_f16_e32 v57, v23, v51
	v_fma_f16 v23, v12, s4, v13
	v_add_f16_e32 v9, v11, v9
	v_add_f16_e32 v11, v14, v15
	v_sub_f16_e32 v13, v14, v15
	v_sub_f16_e32 v14, v30, v31
	v_mul_f16_e32 v15, 0xb482, v14
	v_fma_f16 v16, v11, s16, -v15
	v_add_f16_e32 v48, v42, v48
	v_fma_f16 v42, v12, s16, v26
	v_add_f16_e32 v12, v30, v31
	v_add_f16_e32 v26, v16, v18
	v_mul_f16_e32 v16, 0xb482, v13
	v_fma_f16 v15, v11, s16, v15
	v_add_f16_e32 v53, v23, v53
	v_add_f16_e32 v23, v15, v17
	v_fma_f16 v15, v12, s16, -v16
	v_add_f16_e32 v33, v33, v44
	v_add_f16_e32 v44, v15, v27
	v_mul_f16_e32 v15, 0x3853, v14
	v_fma_f16 v18, v12, s16, v16
	v_fma_f16 v16, v11, s14, -v15
	v_add_f16_e32 v27, v16, v32
	v_mul_f16_e32 v16, 0x3853, v13
	v_fma_f16 v15, v11, s14, v15
	v_add_f16_e32 v30, v15, v28
	v_fma_f16 v15, v12, s14, -v16
	v_add_f16_e32 v47, v15, v34
	v_mul_f16_e32 v15, 0xba0c, v14
	v_fma_f16 v17, v12, s14, v16
	v_fma_f16 v16, v11, s15, -v15
	v_add_f16_e32 v28, v16, v45
	v_mul_f16_e32 v16, 0xba0c, v13
	v_fma_f16 v15, v11, s15, v15
	v_add_f16_e32 v52, v42, v52
	v_add_f16_e32 v42, v18, v29
	;; [unrolled: 1-line block ×3, first 2 shown]
	v_fma_f16 v15, v12, s15, -v16
	v_add_f16_e32 v49, v15, v46
	v_mul_f16_e32 v15, 0x3b47, v14
	v_add_f16_e32 v43, v17, v33
	v_fma_f16 v17, v12, s15, v16
	v_fma_f16 v16, v11, s4, -v15
	v_add_f16_e32 v31, v16, v55
	v_mul_f16_e32 v16, 0x3b47, v13
	v_fma_f16 v15, v11, s4, v15
	v_add_f16_e32 v34, v15, v56
	v_fma_f16 v15, v12, s4, -v16
	v_mul_f16_e32 v14, 0xbbeb, v14
	v_add_f16_e32 v51, v15, v50
	v_fma_f16 v15, v11, s5, -v14
	v_mul_f16_e32 v13, 0xbbeb, v13
	v_fma_f16 v11, v11, s5, v14
	v_add_f16_e32 v33, v11, v10
	v_fma_f16 v10, v12, s5, -v13
	v_add_f16_e32 v50, v10, v9
	v_mul_u32_u24_e32 v9, 0x8f, v19
	v_add_f16_e32 v45, v17, v48
	v_fma_f16 v17, v12, s4, v16
	v_add_f16_e32 v32, v15, v57
	v_fma_f16 v15, v12, s5, v13
	v_add_lshl_u32 v39, v9, v39, 2
	v_pack_b32_f16 v9, v26, v42
	v_add_f16_e32 v46, v17, v52
	v_add_f16_e32 v48, v15, v53
	ds_write2_b32 v39, v25, v9 offset1:13
	v_pack_b32_f16 v9, v27, v43
	v_pack_b32_f16 v10, v28, v45
	ds_write2_b32 v39, v9, v10 offset0:26 offset1:39
	v_pack_b32_f16 v9, v31, v46
	v_pack_b32_f16 v10, v32, v48
	ds_write2_b32 v39, v9, v10 offset0:52 offset1:65
	;; [unrolled: 3-line block ×4, first 2 shown]
	v_pack_b32_f16 v9, v23, v44
	ds_write_b32 v39, v9 offset:520
	s_waitcnt lgkmcnt(0)
	s_barrier
	s_and_saveexec_b64 s[4:5], s[0:1]
	s_cbranch_execz .LBB0_9
; %bb.8:
	ds_read2_b32 v[25:26], v36 offset1:143
	ds_read2_b32 v[27:28], v8 offset0:30 offset1:173
	v_add_u32_e32 v8, 0x800, v36
	ds_read2_b32 v[31:32], v8 offset0:60 offset1:203
	v_add_u32_e32 v8, 0x1100, v36
	v_add_u32_e32 v9, 0xc00, v36
	ds_read2_b32 v[29:30], v8 offset0:56 offset1:199
	v_add_u32_e32 v8, 0x1600, v36
	ds_read2_b32 v[33:34], v9 offset0:90 offset1:233
	ds_read2_b32 v[23:24], v8 offset0:22 offset1:165
	ds_read_b32 v35, v36 offset:6864
	s_waitcnt lgkmcnt(6)
	v_lshrrev_b32_e32 v42, 16, v26
	s_waitcnt lgkmcnt(5)
	v_lshrrev_b32_e32 v43, 16, v27
	v_lshrrev_b32_e32 v45, 16, v28
	s_waitcnt lgkmcnt(4)
	v_lshrrev_b32_e32 v46, 16, v31
	v_lshrrev_b32_e32 v48, 16, v32
	s_waitcnt lgkmcnt(2)
	v_lshrrev_b32_e32 v50, 16, v33
	v_lshrrev_b32_e32 v51, 16, v34
	v_lshrrev_b32_e32 v49, 16, v29
	;; [unrolled: 1-line block ×3, first 2 shown]
	s_waitcnt lgkmcnt(1)
	v_lshrrev_b32_e32 v44, 16, v23
	v_lshrrev_b32_e32 v41, 16, v24
	s_waitcnt lgkmcnt(0)
	v_lshrrev_b32_e32 v40, 16, v35
.LBB0_9:
	s_or_b64 exec, exec, s[4:5]
	v_add_u32_e32 v8, 0xffffff71, v37
	v_cndmask_b32_e64 v8, v8, v37, s[0:1]
	v_mul_hi_i32_i24_e32 v9, 48, v8
	v_mul_i32_i24_e32 v8, 48, v8
	v_mov_b32_e32 v10, s3
	v_add_co_u32_e32 v52, vcc, s2, v8
	v_addc_co_u32_e32 v53, vcc, v10, v9, vcc
	global_load_dwordx4 v[12:15], v[52:53], off offset:520
	global_load_dwordx4 v[8:11], v[52:53], off offset:536
	;; [unrolled: 1-line block ×3, first 2 shown]
	s_movk_i32 s2, 0x3b15
	s_movk_i32 s4, 0x388b
	;; [unrolled: 1-line block ×3, first 2 shown]
	s_mov_b32 s5, 0xb5ac
	s_mov_b32 s14, 0xb9fd
	;; [unrolled: 1-line block ×3, first 2 shown]
	s_waitcnt vmcnt(2)
	v_mul_f16_sdwa v52, v42, v12 dst_sel:DWORD dst_unused:UNUSED_PAD src0_sel:DWORD src1_sel:WORD_1
	v_mul_f16_sdwa v53, v26, v12 dst_sel:DWORD dst_unused:UNUSED_PAD src0_sel:DWORD src1_sel:WORD_1
	;; [unrolled: 1-line block ×4, first 2 shown]
	s_waitcnt vmcnt(0)
	v_mul_f16_sdwa v70, v44, v17 dst_sel:DWORD dst_unused:UNUSED_PAD src0_sel:DWORD src1_sel:WORD_1
	v_mul_f16_sdwa v74, v40, v19 dst_sel:DWORD dst_unused:UNUSED_PAD src0_sel:DWORD src1_sel:WORD_1
	;; [unrolled: 1-line block ×3, first 2 shown]
	v_fma_f16 v26, v26, v12, -v52
	v_fma_f16 v42, v42, v12, v53
	v_mul_f16_sdwa v56, v45, v14 dst_sel:DWORD dst_unused:UNUSED_PAD src0_sel:DWORD src1_sel:WORD_1
	v_mul_f16_sdwa v57, v28, v14 dst_sel:DWORD dst_unused:UNUSED_PAD src0_sel:DWORD src1_sel:WORD_1
	;; [unrolled: 1-line block ×3, first 2 shown]
	v_fma_f16 v27, v27, v13, -v54
	v_fma_f16 v43, v43, v13, v55
	v_fma_f16 v52, v23, v17, -v70
	v_fma_f16 v23, v35, v19, -v74
	v_fma_f16 v35, v40, v19, v75
	v_add_f16_e32 v40, v26, v25
	v_add_f16_sdwa v53, v42, v25 dst_sel:DWORD dst_unused:UNUSED_PAD src0_sel:DWORD src1_sel:WORD_1
	v_mul_f16_sdwa v58, v46, v15 dst_sel:DWORD dst_unused:UNUSED_PAD src0_sel:DWORD src1_sel:WORD_1
	v_mul_f16_sdwa v59, v31, v15 dst_sel:DWORD dst_unused:UNUSED_PAD src0_sel:DWORD src1_sel:WORD_1
	v_fma_f16 v28, v28, v14, -v56
	v_fma_f16 v45, v45, v14, v57
	v_add_f16_e32 v40, v40, v27
	v_add_f16_e32 v53, v53, v43
	v_mul_f16_sdwa v60, v48, v8 dst_sel:DWORD dst_unused:UNUSED_PAD src0_sel:DWORD src1_sel:WORD_1
	v_mul_f16_sdwa v61, v32, v8 dst_sel:DWORD dst_unused:UNUSED_PAD src0_sel:DWORD src1_sel:WORD_1
	v_fma_f16 v31, v31, v15, -v58
	v_fma_f16 v46, v46, v15, v59
	v_add_f16_e32 v40, v40, v28
	v_add_f16_e32 v53, v53, v45
	;; [unrolled: 6-line block ×6, first 2 shown]
	v_fma_f16 v30, v30, v16, -v68
	v_fma_f16 v47, v47, v16, v69
	v_add_f16_e32 v40, v40, v29
	v_add_f16_e32 v53, v53, v49
	v_mul_f16_sdwa v72, v41, v18 dst_sel:DWORD dst_unused:UNUSED_PAD src0_sel:DWORD src1_sel:WORD_1
	v_mul_f16_sdwa v73, v24, v18 dst_sel:DWORD dst_unused:UNUSED_PAD src0_sel:DWORD src1_sel:WORD_1
	v_fma_f16 v44, v44, v17, v71
	v_add_f16_e32 v40, v40, v30
	v_add_f16_e32 v53, v53, v47
	v_fma_f16 v24, v24, v18, -v72
	v_fma_f16 v41, v41, v18, v73
	v_add_f16_e32 v54, v26, v23
	v_sub_f16_e32 v26, v26, v23
	v_add_f16_e32 v40, v40, v52
	v_add_f16_e32 v53, v53, v44
	;; [unrolled: 1-line block ×3, first 2 shown]
	v_mul_f16_e32 v57, 0xb770, v26
	v_add_f16_e32 v40, v40, v24
	v_add_f16_e32 v53, v53, v41
	v_sub_f16_e32 v42, v42, v35
	v_fma_f16 v59, v55, s2, v57
	v_fma_f16 v57, v55, s2, -v57
	v_add_f16_e32 v23, v40, v23
	v_add_f16_sdwa v35, v53, v35 dst_sel:WORD_1 dst_unused:UNUSED_PAD src0_sel:DWORD src1_sel:DWORD
	v_mul_f16_e32 v56, 0xb770, v42
	v_or_b32_e32 v23, v35, v23
	v_add_f16_sdwa v35, v57, v25 dst_sel:DWORD dst_unused:UNUSED_PAD src0_sel:DWORD src1_sel:WORD_1
	v_mul_f16_e32 v40, 0xba95, v42
	v_mul_f16_e32 v57, 0xba95, v26
	;; [unrolled: 1-line block ×10, first 2 shown]
	v_fma_f16 v58, v54, s2, -v56
	v_fma_f16 v56, v54, s2, v56
	v_fma_f16 v53, v54, s4, -v40
	v_fma_f16 v60, v55, s4, v57
	v_fma_f16 v40, v54, s4, v40
	v_fma_f16 v57, v55, s4, -v57
	v_fma_f16 v62, v54, s3, -v61
	v_fma_f16 v64, v55, s3, v63
	v_fma_f16 v61, v54, s3, v61
	v_fma_f16 v63, v55, s3, -v63
	;; [unrolled: 4-line block ×5, first 2 shown]
	v_add_f16_e32 v58, v58, v25
	v_add_f16_sdwa v59, v59, v25 dst_sel:DWORD dst_unused:UNUSED_PAD src0_sel:DWORD src1_sel:WORD_1
	v_add_f16_e32 v56, v56, v25
	v_add_f16_e32 v53, v53, v25
	v_add_f16_sdwa v60, v60, v25 dst_sel:DWORD dst_unused:UNUSED_PAD src0_sel:DWORD src1_sel:WORD_1
	v_add_f16_e32 v40, v40, v25
	v_add_f16_sdwa v57, v57, v25 dst_sel:DWORD dst_unused:UNUSED_PAD src0_sel:DWORD src1_sel:WORD_1
	;; [unrolled: 2-line block ×10, first 2 shown]
	v_add_f16_e32 v26, v27, v24
	v_sub_f16_e32 v24, v27, v24
	v_sub_f16_e32 v27, v43, v41
	v_add_f16_e32 v54, v43, v41
	v_mul_f16_e32 v41, 0xba95, v27
	v_fma_f16 v43, v26, s4, -v41
	v_mul_f16_e32 v55, 0xba95, v24
	v_add_f16_e32 v43, v43, v58
	v_fma_f16 v58, v54, s4, v55
	v_fma_f16 v55, v54, s4, -v55
	v_fma_f16 v41, v26, s4, v41
	v_add_f16_e32 v35, v55, v35
	v_mul_f16_e32 v55, 0xbb7b, v27
	v_add_f16_e32 v41, v41, v56
	v_fma_f16 v56, v26, s5, -v55
	v_add_f16_e32 v53, v56, v53
	v_mul_f16_e32 v56, 0xbb7b, v24
	v_fma_f16 v55, v26, s5, v55
	v_add_f16_e32 v58, v58, v59
	v_fma_f16 v59, v54, s5, v56
	v_add_f16_e32 v40, v55, v40
	v_fma_f16 v55, v54, s5, -v56
	v_mul_f16_e32 v56, 0xb3a8, v27
	v_add_f16_e32 v59, v59, v60
	v_add_f16_e32 v55, v55, v57
	v_fma_f16 v57, v26, s15, -v56
	v_mul_f16_e32 v60, 0xb3a8, v24
	v_fma_f16 v56, v26, s15, v56
	v_add_f16_e32 v57, v57, v62
	v_fma_f16 v62, v54, s15, v60
	v_add_f16_e32 v56, v56, v61
	v_fma_f16 v60, v54, s15, -v60
	v_mul_f16_e32 v61, 0x394e, v27
	v_add_f16_e32 v62, v62, v64
	v_add_f16_e32 v60, v60, v63
	v_fma_f16 v63, v26, s14, -v61
	;; [unrolled: 10-line block ×3, first 2 shown]
	v_mul_f16_e32 v68, 0x3bf1, v24
	v_fma_f16 v65, v26, s3, v65
	v_mul_f16_e32 v27, 0x3770, v27
	v_add_f16_e32 v67, v67, v70
	v_fma_f16 v70, v54, s3, v68
	v_add_f16_e32 v65, v65, v69
	v_fma_f16 v68, v54, s3, -v68
	v_fma_f16 v69, v26, s2, -v27
	v_mul_f16_e32 v24, 0x3770, v24
	v_fma_f16 v26, v26, s2, v27
	v_add_f16_e32 v68, v68, v71
	v_fma_f16 v71, v54, s2, v24
	v_add_f16_e32 v26, v26, v42
	v_fma_f16 v24, v54, s2, -v24
	v_sub_f16_e32 v42, v45, v44
	v_add_f16_e32 v24, v24, v25
	v_add_f16_e32 v25, v28, v52
	;; [unrolled: 1-line block ×3, first 2 shown]
	v_mul_f16_e32 v44, 0xbbf1, v42
	v_sub_f16_e32 v28, v28, v52
	v_fma_f16 v45, v25, s3, -v44
	v_add_f16_e32 v43, v45, v43
	v_mul_f16_e32 v45, 0xbbf1, v28
	v_fma_f16 v44, v25, s3, v44
	v_add_f16_e32 v41, v44, v41
	v_fma_f16 v44, v27, s3, -v45
	v_add_f16_e32 v35, v44, v35
	v_mul_f16_e32 v44, 0xb3a8, v42
	v_fma_f16 v52, v27, s3, v45
	v_fma_f16 v45, v25, s15, -v44
	v_add_f16_e32 v45, v45, v53
	v_mul_f16_e32 v53, 0xb3a8, v28
	v_fma_f16 v44, v25, s15, v44
	v_fma_f16 v54, v27, s15, v53
	v_add_f16_e32 v40, v44, v40
	v_fma_f16 v44, v27, s15, -v53
	v_mul_f16_e32 v53, 0x3b7b, v42
	v_add_f16_e32 v44, v44, v55
	v_fma_f16 v55, v25, s5, -v53
	v_add_f16_e32 v55, v55, v57
	v_mul_f16_e32 v57, 0x3b7b, v28
	v_fma_f16 v53, v25, s5, v53
	v_add_f16_e32 v52, v52, v58
	v_fma_f16 v58, v27, s5, v57
	v_add_f16_e32 v53, v53, v56
	v_fma_f16 v56, v27, s5, -v57
	v_mul_f16_e32 v57, 0x3770, v42
	v_add_f16_e32 v54, v54, v59
	v_fma_f16 v59, v25, s2, -v57
	v_fma_f16 v57, v25, s2, v57
	v_add_f16_e32 v56, v56, v60
	v_mul_f16_e32 v60, 0x3770, v28
	v_add_f16_e32 v57, v57, v61
	v_mul_f16_e32 v61, 0xba95, v42
	v_add_f16_e32 v58, v58, v62
	v_add_f16_e32 v59, v59, v63
	v_fma_f16 v62, v27, s2, v60
	v_fma_f16 v60, v27, s2, -v60
	v_fma_f16 v63, v25, s4, -v61
	v_fma_f16 v61, v25, s4, v61
	v_mul_f16_e32 v42, 0xb94e, v42
	v_add_f16_e32 v60, v60, v64
	v_mul_f16_e32 v64, 0xba95, v28
	v_add_f16_e32 v61, v61, v65
	v_fma_f16 v65, v25, s14, -v42
	v_mul_f16_e32 v28, 0xb94e, v28
	v_fma_f16 v25, v25, s14, v42
	v_add_f16_e32 v25, v25, v26
	v_fma_f16 v26, v27, s14, -v28
	v_add_f16_e32 v63, v63, v67
	v_fma_f16 v67, v27, s14, v28
	v_add_f16_e32 v24, v26, v24
	v_add_f16_e32 v26, v31, v30
	v_sub_f16_e32 v28, v31, v30
	v_sub_f16_e32 v30, v46, v47
	v_mul_f16_e32 v31, 0xbb7b, v30
	v_fma_f16 v42, v26, s5, -v31
	v_add_f16_e32 v62, v62, v66
	v_fma_f16 v66, v27, s4, v64
	v_fma_f16 v64, v27, s4, -v64
	v_add_f16_e32 v27, v46, v47
	v_add_f16_e32 v42, v42, v43
	v_mul_f16_e32 v43, 0xbb7b, v28
	v_fma_f16 v31, v26, s5, v31
	v_add_f16_e32 v31, v31, v41
	v_fma_f16 v41, v27, s5, -v43
	v_add_f16_e32 v35, v41, v35
	v_mul_f16_e32 v41, 0x394e, v30
	v_fma_f16 v46, v27, s5, v43
	v_fma_f16 v43, v26, s14, -v41
	v_add_f16_e32 v43, v43, v45
	v_mul_f16_e32 v45, 0x394e, v28
	v_fma_f16 v41, v26, s14, v41
	v_add_f16_e32 v40, v41, v40
	v_fma_f16 v41, v27, s14, -v45
	v_add_f16_e32 v41, v41, v44
	v_mul_f16_e32 v44, 0x3770, v30
	v_fma_f16 v47, v27, s14, v45
	v_fma_f16 v45, v26, s2, -v44
	v_fma_f16 v44, v26, s2, v44
	v_add_f16_e32 v46, v46, v52
	v_mul_f16_e32 v52, 0x3770, v28
	v_add_f16_e32 v44, v44, v53
	v_mul_f16_e32 v53, 0xbbf1, v30
	v_add_f16_e32 v47, v47, v54
	v_add_f16_e32 v45, v45, v55
	v_fma_f16 v54, v27, s2, v52
	v_fma_f16 v52, v27, s2, -v52
	v_fma_f16 v55, v26, s3, -v53
	v_fma_f16 v53, v26, s3, v53
	v_add_f16_e32 v52, v52, v56
	v_mul_f16_e32 v56, 0xbbf1, v28
	v_add_f16_e32 v53, v53, v57
	v_mul_f16_e32 v57, 0x33a8, v30
	v_add_f16_e32 v54, v54, v58
	v_add_f16_e32 v55, v55, v59
	v_fma_f16 v58, v27, s3, v56
	v_fma_f16 v56, v27, s3, -v56
	v_fma_f16 v59, v26, s15, -v57
	v_fma_f16 v57, v26, s15, v57
	v_mul_f16_e32 v30, 0x3a95, v30
	v_add_f16_e32 v56, v56, v60
	v_mul_f16_e32 v60, 0x33a8, v28
	v_add_f16_e32 v57, v57, v61
	v_fma_f16 v61, v26, s4, -v30
	v_mul_f16_e32 v28, 0x3a95, v28
	v_fma_f16 v26, v26, s4, v30
	v_add_f16_e32 v25, v26, v25
	v_fma_f16 v26, v27, s4, -v28
	v_add_f16_e32 v59, v59, v63
	v_fma_f16 v63, v27, s4, v28
	v_add_f16_e32 v24, v26, v24
	v_add_f16_e32 v26, v32, v29
	v_sub_f16_e32 v28, v32, v29
	v_sub_f16_e32 v29, v48, v49
	v_mul_f16_e32 v30, 0xb94e, v29
	v_fma_f16 v32, v26, s14, -v30
	v_add_f16_e32 v58, v58, v62
	v_fma_f16 v62, v27, s15, v60
	v_fma_f16 v60, v27, s15, -v60
	v_add_f16_e32 v27, v48, v49
	v_add_f16_e32 v32, v32, v42
	v_mul_f16_e32 v42, 0xb94e, v28
	v_fma_f16 v30, v26, s14, v30
	v_add_f16_e32 v30, v30, v31
	v_fma_f16 v31, v27, s14, -v42
	v_add_f16_e32 v31, v31, v35
	v_mul_f16_e32 v35, 0x3bf1, v29
	v_fma_f16 v48, v27, s14, v42
	v_fma_f16 v42, v26, s3, -v35
	v_add_f16_e32 v43, v42, v43
	v_mul_f16_e32 v42, 0x3bf1, v28
	v_fma_f16 v35, v26, s3, v35
	v_add_f16_e32 v35, v35, v40
	v_fma_f16 v40, v27, s3, -v42
	v_add_f16_e32 v40, v40, v41
	v_mul_f16_e32 v41, 0xba95, v29
	v_add_f16_e32 v64, v64, v68
	v_add_f16_e32 v46, v48, v46
	v_fma_f16 v48, v27, s3, v42
	v_fma_f16 v42, v26, s4, -v41
	v_add_f16_e32 v60, v60, v64
	v_add_f16_e32 v64, v42, v45
	v_mul_f16_e32 v42, 0xba95, v28
	v_fma_f16 v45, v27, s4, v42
	v_fma_f16 v42, v27, s4, -v42
	v_fma_f16 v41, v26, s4, v41
	v_add_f16_e32 v52, v42, v52
	v_mul_f16_e32 v42, 0x33a8, v29
	v_add_f16_e32 v41, v41, v44
	v_fma_f16 v44, v26, s15, -v42
	v_add_f16_e32 v55, v44, v55
	v_mul_f16_e32 v44, 0x33a8, v28
	v_fma_f16 v42, v26, s15, v42
	v_add_f16_e32 v53, v42, v53
	v_fma_f16 v42, v27, s15, -v44
	v_add_f16_e32 v56, v42, v56
	v_mul_f16_e32 v42, 0x3770, v29
	v_add_f16_e32 v54, v45, v54
	v_fma_f16 v45, v27, s15, v44
	v_fma_f16 v44, v26, s2, -v42
	v_add_f16_e32 v59, v44, v59
	v_mul_f16_e32 v44, 0x3770, v28
	v_fma_f16 v42, v26, s2, v42
	v_add_f16_e32 v70, v70, v72
	v_add_f16_e32 v69, v69, v73
	;; [unrolled: 1-line block ×3, first 2 shown]
	v_fma_f16 v42, v27, s2, -v44
	v_mul_f16_e32 v29, 0xbb7b, v29
	v_add_f16_e32 v71, v71, v74
	v_add_f16_e32 v66, v66, v70
	;; [unrolled: 1-line block ×4, first 2 shown]
	v_fma_f16 v42, v26, s5, -v29
	v_mul_f16_e32 v28, 0xbb7b, v28
	v_fma_f16 v26, v26, s5, v29
	v_add_f16_e32 v67, v67, v71
	v_add_f16_e32 v62, v62, v66
	;; [unrolled: 1-line block ×4, first 2 shown]
	v_fma_f16 v26, v27, s5, -v28
	v_add_f16_e32 v66, v33, v34
	v_sub_f16_e32 v68, v33, v34
	v_sub_f16_e32 v34, v50, v51
	v_add_f16_e32 v63, v63, v67
	v_add_f16_e32 v58, v45, v58
	v_fma_f16 v45, v27, s2, v44
	v_add_f16_e32 v61, v42, v61
	v_fma_f16 v42, v27, s5, v28
	v_add_f16_e32 v65, v26, v24
	v_add_f16_e32 v67, v50, v51
	v_mul_f16_e32 v26, 0xb3a8, v34
	v_mul_f16_e32 v27, 0xb3a8, v68
	v_fma_f16 v24, v66, s15, -v26
	v_fma_f16 v28, v67, s15, v27
	v_fma_f16 v26, v66, s15, v26
	v_add_f16_e32 v63, v42, v63
	v_add_f16_e32 v42, v28, v46
	v_add_f16_e32 v44, v26, v30
	v_fma_f16 v26, v67, s15, -v27
	v_mul_f16_e32 v27, 0x3770, v34
	v_mul_f16_e32 v28, 0x3770, v68
	v_add_f16_e32 v48, v48, v47
	v_add_f16_e32 v47, v26, v31
	v_fma_f16 v26, v66, s2, -v27
	v_fma_f16 v29, v67, s2, v28
	v_fma_f16 v27, v66, s2, v27
	v_add_f16_e32 v62, v45, v62
	v_add_f16_e32 v45, v29, v48
	;; [unrolled: 1-line block ×3, first 2 shown]
	v_fma_f16 v27, v67, s2, -v28
	v_mul_f16_e32 v28, 0xb94e, v34
	v_mul_f16_e32 v29, 0xb94e, v68
	v_add_f16_e32 v49, v27, v40
	v_fma_f16 v27, v66, s14, -v28
	v_fma_f16 v30, v67, s14, v29
	v_fma_f16 v28, v66, s14, v28
	v_mul_f16_e32 v35, 0xbb7b, v68
	v_add_f16_e32 v24, v24, v32
	v_add_f16_e32 v46, v30, v54
	;; [unrolled: 1-line block ×3, first 2 shown]
	v_fma_f16 v28, v67, s14, -v29
	v_mul_f16_e32 v29, 0x3a95, v34
	v_mul_f16_e32 v32, 0x3a95, v68
	v_fma_f16 v40, v67, s5, v35
	v_fma_f16 v35, v67, s5, -v35
	v_add_f16_e32 v51, v28, v52
	v_fma_f16 v28, v66, s4, -v29
	v_fma_f16 v33, v67, s4, v32
	v_fma_f16 v29, v66, s4, v29
	v_add_f16_e32 v54, v35, v60
	v_mul_f16_e32 v35, 0x3bf1, v34
	v_add_f16_e32 v48, v33, v58
	v_add_f16_e32 v33, v29, v53
	v_fma_f16 v29, v67, s4, -v32
	v_mul_f16_e32 v32, 0xbb7b, v34
	v_add_f16_e32 v50, v40, v62
	v_fma_f16 v34, v66, s3, -v35
	v_mul_f16_e32 v40, 0x3bf1, v68
	v_fma_f16 v35, v66, s3, v35
	v_add_f16_e32 v53, v29, v56
	v_fma_f16 v29, v66, s5, -v32
	v_fma_f16 v32, v66, s5, v32
	v_fma_f16 v41, v67, s3, v40
	v_add_f16_e32 v35, v35, v25
	v_fma_f16 v25, v67, s3, -v40
	v_add_f16_e32 v26, v26, v43
	v_add_f16_e32 v27, v27, v64
	;; [unrolled: 1-line block ×8, first 2 shown]
	s_and_saveexec_b64 s[2:3], s[0:1]
	s_cbranch_execz .LBB0_11
; %bb.10:
	s_mov_b32 s4, 0x5040100
	v_perm_b32 v25, v42, v24, s4
	ds_write2_b32 v36, v23, v25 offset1:143
	v_perm_b32 v25, v45, v26, s4
	v_perm_b32 v40, v46, v27, s4
	v_add_u32_e32 v41, 0x400, v36
	ds_write2_b32 v41, v25, v40 offset0:30 offset1:173
	v_perm_b32 v25, v48, v28, s4
	v_perm_b32 v40, v50, v29, s4
	v_add_u32_e32 v41, 0x800, v36
	ds_write2_b32 v41, v25, v40 offset0:60 offset1:203
	;; [unrolled: 4-line block ×5, first 2 shown]
	v_perm_b32 v25, v47, v44, s4
	ds_write_b32 v36, v25 offset:6864
.LBB0_11:
	s_or_b64 exec, exec, s[2:3]
	s_waitcnt lgkmcnt(0)
	s_barrier
	s_and_saveexec_b64 s[2:3], s[0:1]
	s_cbranch_execz .LBB0_13
; %bb.12:
	v_mov_b32_e32 v25, s7
	v_add_co_u32_e32 v43, vcc, s6, v36
	v_addc_co_u32_e32 v25, vcc, 0, v25, vcc
	v_add_co_u32_e32 v40, vcc, 0x1d0c, v43
	v_addc_co_u32_e32 v41, vcc, 0, v25, vcc
	v_add_co_u32_e32 v56, vcc, 0x1000, v43
	v_addc_co_u32_e32 v57, vcc, 0, v25, vcc
	global_load_dword v58, v[56:57], off offset:3340
	global_load_dword v62, v[40:41], off offset:572
	;; [unrolled: 1-line block ×8, first 2 shown]
	s_movk_i32 s4, 0x2000
	v_add_co_u32_e32 v40, vcc, s4, v43
	v_addc_co_u32_e32 v41, vcc, 0, v25, vcc
	global_load_dword v69, v[40:41], off offset:3820
	s_movk_i32 s4, 0x3000
	v_add_co_u32_e32 v40, vcc, s4, v43
	v_addc_co_u32_e32 v41, vcc, 0, v25, vcc
	global_load_dword v25, v[40:41], off offset:296
	global_load_dword v43, v[40:41], off offset:868
	;; [unrolled: 1-line block ×4, first 2 shown]
	ds_read_b32 v56, v36
	v_add_u32_e32 v70, 0x200, v36
	v_add_u32_e32 v71, 0x600, v36
	;; [unrolled: 1-line block ×4, first 2 shown]
	s_waitcnt lgkmcnt(0)
	v_lshrrev_b32_e32 v57, 16, v56
	s_waitcnt vmcnt(12)
	v_mul_f16_sdwa v59, v57, v58 dst_sel:DWORD dst_unused:UNUSED_PAD src0_sel:DWORD src1_sel:WORD_1
	v_mul_f16_sdwa v60, v56, v58 dst_sel:DWORD dst_unused:UNUSED_PAD src0_sel:DWORD src1_sel:WORD_1
	v_fma_f16 v56, v56, v58, -v59
	v_fma_f16 v57, v57, v58, v60
	v_pack_b32_f16 v56, v56, v57
	ds_write_b32 v36, v56
	ds_read2_b32 v[56:57], v70 offset0:15 offset1:158
	ds_read2_b32 v[40:41], v71 offset0:45 offset1:188
	ds_read2_b32 v[58:59], v72 offset0:75 offset1:218
	ds_read2_b32 v[60:61], v73 offset0:105 offset1:248
	s_waitcnt lgkmcnt(2)
	v_lshrrev_b32_e32 v80, 16, v40
	v_lshrrev_b32_e32 v76, 16, v56
	s_waitcnt vmcnt(11)
	v_mul_f16_sdwa v77, v56, v62 dst_sel:DWORD dst_unused:UNUSED_PAD src0_sel:DWORD src1_sel:WORD_1
	v_lshrrev_b32_e32 v78, 16, v57
	s_waitcnt vmcnt(10)
	v_mul_f16_sdwa v79, v57, v63 dst_sel:DWORD dst_unused:UNUSED_PAD src0_sel:DWORD src1_sel:WORD_1
	s_waitcnt vmcnt(9)
	v_mul_f16_sdwa v81, v40, v64 dst_sel:DWORD dst_unused:UNUSED_PAD src0_sel:DWORD src1_sel:WORD_1
	v_lshrrev_b32_e32 v82, 16, v41
	s_waitcnt vmcnt(8)
	v_mul_f16_sdwa v83, v41, v65 dst_sel:DWORD dst_unused:UNUSED_PAD src0_sel:DWORD src1_sel:WORD_1
	s_waitcnt lgkmcnt(1)
	v_lshrrev_b32_e32 v84, 16, v58
	s_waitcnt vmcnt(7)
	v_mul_f16_sdwa v85, v58, v66 dst_sel:DWORD dst_unused:UNUSED_PAD src0_sel:DWORD src1_sel:WORD_1
	v_lshrrev_b32_e32 v86, 16, v59
	v_mul_f16_sdwa v90, v76, v62 dst_sel:DWORD dst_unused:UNUSED_PAD src0_sel:DWORD src1_sel:WORD_1
	v_fma_f16 v76, v76, v62, v77
	v_mul_f16_sdwa v77, v78, v63 dst_sel:DWORD dst_unused:UNUSED_PAD src0_sel:DWORD src1_sel:WORD_1
	s_waitcnt vmcnt(6)
	v_mul_f16_sdwa v87, v59, v67 dst_sel:DWORD dst_unused:UNUSED_PAD src0_sel:DWORD src1_sel:WORD_1
	v_fma_f16 v78, v78, v63, v79
	v_mul_f16_sdwa v79, v80, v64 dst_sel:DWORD dst_unused:UNUSED_PAD src0_sel:DWORD src1_sel:WORD_1
	v_fma_f16 v80, v80, v64, v81
	;; [unrolled: 2-line block ×4, first 2 shown]
	v_mul_f16_sdwa v85, v86, v67 dst_sel:DWORD dst_unused:UNUSED_PAD src0_sel:DWORD src1_sel:WORD_1
	v_fma_f16 v56, v56, v62, -v90
	v_fma_f16 v57, v57, v63, -v77
	v_fma_f16 v86, v86, v67, v87
	v_fma_f16 v40, v40, v64, -v79
	v_fma_f16 v41, v41, v65, -v81
	;; [unrolled: 1-line block ×4, first 2 shown]
	v_pack_b32_f16 v56, v56, v76
	v_pack_b32_f16 v57, v57, v78
	;; [unrolled: 1-line block ×6, first 2 shown]
	ds_write2_b32 v70, v56, v57 offset0:15 offset1:158
	ds_write2_b32 v71, v40, v41 offset0:45 offset1:188
	;; [unrolled: 1-line block ×3, first 2 shown]
	s_waitcnt lgkmcnt(3)
	v_lshrrev_b32_e32 v57, 16, v61
	v_lshrrev_b32_e32 v88, 16, v60
	s_waitcnt vmcnt(4)
	v_mul_f16_sdwa v40, v57, v69 dst_sel:DWORD dst_unused:UNUSED_PAD src0_sel:DWORD src1_sel:WORD_1
	v_add_u32_e32 v59, 0x1400, v36
	v_mul_f16_sdwa v89, v60, v68 dst_sel:DWORD dst_unused:UNUSED_PAD src0_sel:DWORD src1_sel:WORD_1
	v_mul_f16_sdwa v87, v88, v68 dst_sel:DWORD dst_unused:UNUSED_PAD src0_sel:DWORD src1_sel:WORD_1
	v_fma_f16 v58, v61, v69, -v40
	ds_read2_b32 v[40:41], v59 offset0:7 offset1:150
	v_fma_f16 v88, v88, v68, v89
	v_fma_f16 v60, v60, v68, -v87
	v_pack_b32_f16 v56, v60, v88
	v_mul_f16_sdwa v60, v61, v69 dst_sel:DWORD dst_unused:UNUSED_PAD src0_sel:DWORD src1_sel:WORD_1
	v_fma_f16 v57, v57, v69, v60
	v_pack_b32_f16 v57, v58, v57
	ds_write2_b32 v73, v56, v57 offset0:105 offset1:248
	s_waitcnt lgkmcnt(1)
	v_lshrrev_b32_e32 v56, 16, v40
	s_waitcnt vmcnt(3)
	v_mul_f16_sdwa v57, v56, v25 dst_sel:DWORD dst_unused:UNUSED_PAD src0_sel:DWORD src1_sel:WORD_1
	v_fma_f16 v57, v40, v25, -v57
	v_mul_f16_sdwa v40, v40, v25 dst_sel:DWORD dst_unused:UNUSED_PAD src0_sel:DWORD src1_sel:WORD_1
	v_fma_f16 v25, v56, v25, v40
	v_lshrrev_b32_e32 v40, 16, v41
	s_waitcnt vmcnt(2)
	v_mul_f16_sdwa v56, v40, v43 dst_sel:DWORD dst_unused:UNUSED_PAD src0_sel:DWORD src1_sel:WORD_1
	v_add_u32_e32 v60, 0x1800, v36
	v_pack_b32_f16 v25, v57, v25
	v_fma_f16 v58, v41, v43, -v56
	ds_read2_b32 v[56:57], v60 offset0:37 offset1:180
	v_mul_f16_sdwa v41, v41, v43 dst_sel:DWORD dst_unused:UNUSED_PAD src0_sel:DWORD src1_sel:WORD_1
	v_fma_f16 v40, v40, v43, v41
	v_pack_b32_f16 v40, v58, v40
	ds_write2_b32 v59, v25, v40 offset0:7 offset1:150
	s_waitcnt lgkmcnt(1)
	v_lshrrev_b32_e32 v25, 16, v56
	s_waitcnt vmcnt(1)
	v_mul_f16_sdwa v40, v25, v74 dst_sel:DWORD dst_unused:UNUSED_PAD src0_sel:DWORD src1_sel:WORD_1
	v_mul_f16_sdwa v41, v56, v74 dst_sel:DWORD dst_unused:UNUSED_PAD src0_sel:DWORD src1_sel:WORD_1
	v_fma_f16 v40, v56, v74, -v40
	v_fma_f16 v25, v25, v74, v41
	v_pack_b32_f16 v25, v40, v25
	v_lshrrev_b32_e32 v40, 16, v57
	s_waitcnt vmcnt(0)
	v_mul_f16_sdwa v41, v40, v75 dst_sel:DWORD dst_unused:UNUSED_PAD src0_sel:DWORD src1_sel:WORD_1
	v_mul_f16_sdwa v43, v57, v75 dst_sel:DWORD dst_unused:UNUSED_PAD src0_sel:DWORD src1_sel:WORD_1
	v_fma_f16 v41, v57, v75, -v41
	v_fma_f16 v40, v40, v75, v43
	v_pack_b32_f16 v40, v41, v40
	ds_write2_b32 v60, v25, v40 offset0:37 offset1:180
.LBB0_13:
	s_or_b64 exec, exec, s[2:3]
	s_waitcnt lgkmcnt(0)
	s_barrier
	s_and_saveexec_b64 s[2:3], s[0:1]
	s_cbranch_execz .LBB0_15
; %bb.14:
	v_add_u32_e32 v25, 0x400, v36
	v_add_u32_e32 v28, 0x800, v36
	ds_read2_b32 v[23:24], v36 offset1:143
	ds_read2_b32 v[26:27], v25 offset0:30 offset1:173
	ds_read2_b32 v[28:29], v28 offset0:60 offset1:203
	v_add_u32_e32 v25, 0xc00, v36
	ds_read2_b32 v[34:35], v25 offset0:90 offset1:233
	v_add_u32_e32 v25, 0x1100, v36
	;; [unrolled: 2-line block ×3, first 2 shown]
	ds_read2_b32 v[30:31], v25 offset0:22 offset1:165
	ds_read_b32 v44, v36 offset:6864
	s_waitcnt lgkmcnt(6)
	v_lshrrev_b32_e32 v42, 16, v24
	s_waitcnt lgkmcnt(5)
	v_lshrrev_b32_e32 v45, 16, v26
	v_lshrrev_b32_e32 v46, 16, v27
	s_waitcnt lgkmcnt(4)
	v_lshrrev_b32_e32 v48, 16, v28
	;; [unrolled: 3-line block ×6, first 2 shown]
.LBB0_15:
	s_or_b64 exec, exec, s[2:3]
	v_sub_f16_e32 v69, v42, v47
	v_add_f16_e32 v56, v44, v24
	v_add_f16_e32 v90, v47, v42
	s_movk_i32 s4, 0x3b15
	v_mul_f16_e32 v70, 0xb770, v69
	v_sub_f16_e32 v71, v45, v49
	v_sub_f16_e32 v57, v24, v44
	s_mov_b32 s29, 0xb770
	v_mul_f16_e32 v77, 0x3b15, v90
	v_fma_f16 v25, v56, s4, -v70
	s_movk_i32 s5, 0x388b
	v_add_f16_e32 v58, v31, v26
	v_add_f16_e32 v94, v49, v45
	v_mul_f16_e32 v72, 0xba95, v71
	v_add_f16_e32 v25, v25, v23
	v_fma_f16 v40, v57, s29, v77
	s_mov_b32 s14, 0xba95
	v_mul_f16_e32 v84, 0xba95, v69
	v_sub_f16_e32 v59, v26, v31
	v_mul_f16_e32 v80, 0x388b, v94
	v_fma_f16 v60, v58, s5, -v72
	v_add_f16_sdwa v40, v40, v23 dst_sel:DWORD dst_unused:UNUSED_PAD src0_sel:DWORD src1_sel:WORD_1
	v_mul_f16_e32 v86, 0x388b, v90
	v_fma_f16 v41, v56, s5, -v84
	v_add_f16_e32 v25, v60, v25
	v_fma_f16 v60, v59, s14, v80
	s_mov_b32 s15, 0xb5ac
	v_mul_f16_e32 v87, 0xbb7b, v71
	v_add_f16_e32 v41, v41, v23
	v_fma_f16 v43, v57, s14, v86
	v_add_f16_e32 v40, v60, v40
	s_mov_b32 s21, 0xbb7b
	v_mul_f16_e32 v89, 0xb5ac, v94
	v_fma_f16 v60, v58, s15, -v87
	v_add_f16_sdwa v43, v43, v23 dst_sel:DWORD dst_unused:UNUSED_PAD src0_sel:DWORD src1_sel:WORD_1
	v_add_f16_e32 v41, v60, v41
	v_fma_f16 v60, v59, s21, v89
	v_sub_f16_e32 v73, v46, v51
	v_add_f16_e32 v43, v60, v43
	v_add_f16_e32 v60, v30, v27
	;; [unrolled: 1-line block ×3, first 2 shown]
	s_movk_i32 s16, 0x2fb7
	v_mul_f16_e32 v74, 0xbbf1, v73
	v_sub_f16_e32 v61, v27, v30
	s_mov_b32 s18, 0xbbf1
	v_mul_f16_e32 v83, 0x2fb7, v97
	v_fma_f16 v62, v60, s16, -v74
	v_add_f16_e32 v25, v62, v25
	v_fma_f16 v62, v61, s18, v83
	s_mov_b32 s17, 0xbbc4
	v_mul_f16_e32 v92, 0xb3a8, v73
	v_add_f16_e32 v40, v62, v40
	s_mov_b32 s20, 0xb3a8
	v_mul_f16_e32 v95, 0xbbc4, v97
	v_fma_f16 v62, v60, s17, -v92
	v_add_f16_e32 v41, v62, v41
	v_fma_f16 v62, v61, s20, v95
	v_sub_f16_e32 v75, v48, v53
	v_add_f16_e32 v43, v62, v43
	v_add_f16_e32 v62, v33, v28
	;; [unrolled: 1-line block ×3, first 2 shown]
	v_mul_f16_e32 v76, 0xbb7b, v75
	v_sub_f16_e32 v64, v28, v33
	v_mul_f16_e32 v85, 0xb5ac, v100
	v_fma_f16 v63, v62, s15, -v76
	v_add_f16_e32 v25, v63, v25
	v_fma_f16 v63, v64, s21, v85
	s_mov_b32 s19, 0xb9fd
	v_mul_f16_e32 v93, 0x394e, v75
	v_add_f16_e32 v40, v63, v40
	s_movk_i32 s23, 0x394e
	v_mul_f16_e32 v98, 0xb9fd, v100
	v_fma_f16 v63, v62, s19, -v93
	v_sub_f16_e32 v78, v50, v54
	v_add_f16_e32 v41, v63, v41
	v_fma_f16 v63, v64, s23, v98
	v_add_f16_e32 v65, v32, v29
	v_add_f16_e32 v102, v54, v50
	v_mul_f16_e32 v79, 0xb94e, v78
	v_add_f16_e32 v43, v63, v43
	v_sub_f16_e32 v66, v29, v32
	s_mov_b32 s22, 0xb94e
	v_mul_f16_e32 v88, 0xb9fd, v102
	v_fma_f16 v63, v65, s19, -v79
	v_add_f16_e32 v25, v63, v25
	v_fma_f16 v63, v66, s22, v88
	v_mul_f16_e32 v96, 0x3bf1, v78
	v_add_f16_e32 v40, v63, v40
	s_movk_i32 s25, 0x3bf1
	v_mul_f16_e32 v101, 0x2fb7, v102
	v_fma_f16 v63, v65, s16, -v96
	v_sub_f16_e32 v81, v52, v55
	v_add_f16_e32 v104, v63, v41
	v_fma_f16 v41, v66, s25, v101
	v_add_f16_e32 v67, v35, v34
	v_add_f16_e32 v103, v55, v52
	v_mul_f16_e32 v82, 0xb3a8, v81
	v_add_f16_e32 v105, v41, v43
	v_sub_f16_e32 v68, v34, v35
	v_mul_f16_e32 v91, 0xbbc4, v103
	v_fma_f16 v41, v67, s17, -v82
	v_add_f16_e32 v41, v41, v25
	v_fma_f16 v25, v68, s20, v91
	s_movk_i32 s24, 0x3770
	v_mul_f16_e32 v99, 0x3770, v81
	v_mul_f16_e32 v63, 0x3b15, v103
	v_add_f16_e32 v43, v25, v40
	v_fma_f16 v25, v67, s4, -v99
	v_fma_f16 v40, v68, s24, v63
	v_add_f16_e32 v25, v25, v104
	v_add_f16_e32 v40, v40, v105
	s_barrier
	s_and_saveexec_b64 s[2:3], s[0:1]
	s_cbranch_execz .LBB0_17
; %bb.16:
	v_mul_f16_e32 v104, 0xbbc4, v90
	s_movk_i32 s27, 0x33a8
	v_fma_f16 v105, v57, s27, v104
	v_mul_f16_e32 v106, 0x3b15, v94
	v_add_f16_sdwa v105, v105, v23 dst_sel:DWORD dst_unused:UNUSED_PAD src0_sel:DWORD src1_sel:WORD_1
	v_fma_f16 v107, v59, s29, v106
	v_add_f16_e32 v105, v107, v105
	v_mul_f16_e32 v107, 0xb9fd, v97
	v_fma_f16 v108, v61, s23, v107
	v_add_f16_e32 v105, v108, v105
	v_mul_f16_e32 v108, 0x388b, v100
	;; [unrolled: 3-line block ×3, first 2 shown]
	s_movk_i32 s26, 0x3b7b
	v_fma_f16 v110, v66, s26, v109
	v_add_f16_e32 v105, v110, v105
	v_mul_f16_e32 v110, 0x2fb7, v103
	v_fma_f16 v111, v68, s18, v110
	v_add_f16_e32 v105, v111, v105
	v_mul_f16_e32 v111, 0xb3a8, v69
	v_fma_f16 v112, v56, s17, v111
	v_mul_f16_e32 v113, 0x3770, v71
	v_add_f16_e32 v112, v112, v23
	v_fma_f16 v114, v58, s4, v113
	v_add_f16_e32 v112, v114, v112
	v_mul_f16_e32 v114, 0xb94e, v73
	v_fma_f16 v115, v60, s19, v114
	v_add_f16_e32 v112, v115, v112
	v_mul_f16_e32 v115, 0x3a95, v75
	;; [unrolled: 3-line block ×5, first 2 shown]
	v_fma_f16 v119, v57, s23, v118
	v_mul_f16_e32 v120, 0x2fb7, v94
	v_add_f16_sdwa v119, v119, v23 dst_sel:DWORD dst_unused:UNUSED_PAD src0_sel:DWORD src1_sel:WORD_1
	v_fma_f16 v121, v59, s18, v120
	s_movk_i32 s28, 0x3a95
	v_add_f16_e32 v119, v121, v119
	v_mul_f16_e32 v121, 0x388b, v97
	v_fma_f16 v122, v61, s28, v121
	v_add_f16_e32 v119, v122, v119
	v_mul_f16_e32 v122, 0xbbc4, v100
	v_fma_f16 v123, v64, s20, v122
	;; [unrolled: 3-line block ×5, first 2 shown]
	v_mul_f16_e32 v127, 0x3bf1, v71
	v_add_f16_e32 v126, v126, v23
	v_fma_f16 v128, v58, s16, v127
	v_add_f16_e32 v126, v128, v126
	v_mul_f16_e32 v128, 0xba95, v73
	v_fma_f16 v129, v60, s5, v128
	v_add_f16_e32 v126, v129, v126
	v_mul_f16_e32 v129, 0x33a8, v75
	;; [unrolled: 3-line block ×5, first 2 shown]
	v_fma_f16 v133, v57, s26, v132
	v_mul_f16_e32 v134, 0xb9fd, v94
	v_add_f16_sdwa v133, v133, v23 dst_sel:DWORD dst_unused:UNUSED_PAD src0_sel:DWORD src1_sel:WORD_1
	v_fma_f16 v135, v59, s22, v134
	v_add_f16_e32 v133, v135, v133
	v_mul_f16_e32 v135, 0x3b15, v97
	v_fma_f16 v136, v61, s29, v135
	v_add_f16_e32 v133, v136, v133
	v_mul_f16_e32 v136, 0x2fb7, v100
	;; [unrolled: 3-line block ×5, first 2 shown]
	v_fma_f16 v140, v56, s15, v139
	v_mul_f16_e32 v141, 0x394e, v71
	v_add_f16_e32 v140, v140, v23
	v_fma_f16 v142, v58, s19, v141
	v_add_f16_e32 v140, v142, v140
	v_mul_f16_e32 v142, 0x3770, v73
	v_fma_f16 v143, v60, s4, v142
	v_add_f16_e32 v140, v143, v140
	v_mul_f16_e32 v143, 0xbbf1, v75
	;; [unrolled: 3-line block ×4, first 2 shown]
	v_fma_f16 v146, v67, s5, v145
	v_mul_f16_e32 v90, 0x2fb7, v90
	v_add_f16_e32 v140, v146, v140
	v_fma_f16 v146, v57, s25, v90
	v_mul_f16_e32 v94, 0xbbc4, v94
	v_add_f16_sdwa v146, v146, v23 dst_sel:DWORD dst_unused:UNUSED_PAD src0_sel:DWORD src1_sel:WORD_1
	v_fma_f16 v147, v59, s27, v94
	v_mul_f16_e32 v97, 0xb5ac, v97
	v_add_f16_e32 v146, v147, v146
	v_fma_f16 v147, v61, s21, v97
	v_mul_f16_e32 v100, 0x3b15, v100
	v_add_f16_e32 v146, v147, v146
	;; [unrolled: 3-line block ×4, first 2 shown]
	v_fma_f16 v147, v68, s23, v103
	v_add_f16_e32 v146, v147, v146
	v_mul_f16_e32 v147, 0xba95, v57
	v_sub_f16_e32 v86, v86, v147
	v_mul_f16_e32 v147, 0xbb7b, v59
	v_sub_f16_e32 v89, v89, v147
	;; [unrolled: 2-line block ×5, first 2 shown]
	v_mul_f16_e32 v147, 0x388b, v56
	v_add_f16_e32 v84, v147, v84
	v_mul_f16_e32 v147, 0xb5ac, v58
	v_add_f16_e32 v87, v147, v87
	v_add_f16_e32 v84, v84, v23
	v_add_f16_e32 v84, v87, v84
	v_mul_f16_e32 v87, 0xbbc4, v60
	v_add_f16_e32 v87, v87, v92
	v_add_f16_e32 v84, v87, v84
	v_mul_f16_e32 v87, 0xb9fd, v62
	v_add_f16_e32 v87, v87, v93
	v_add_f16_e32 v84, v87, v84
	;; [unrolled: 3-line block ×4, first 2 shown]
	v_mul_f16_e32 v87, 0xb770, v57
	v_sub_f16_e32 v77, v77, v87
	v_mul_f16_e32 v87, 0xba95, v59
	v_sub_f16_e32 v80, v80, v87
	v_add_f16_sdwa v77, v77, v23 dst_sel:DWORD dst_unused:UNUSED_PAD src0_sel:DWORD src1_sel:WORD_1
	v_add_f16_e32 v77, v80, v77
	v_mul_f16_e32 v80, 0xbbf1, v61
	v_sub_f16_e32 v80, v83, v80
	v_add_f16_e32 v77, v80, v77
	v_mul_f16_e32 v80, 0xbb7b, v64
	v_sub_f16_e32 v80, v85, v80
	v_add_f16_e32 v77, v80, v77
	v_mul_f16_e32 v80, 0xb94e, v66
	v_mul_f16_e32 v85, 0x3b15, v56
	v_sub_f16_e32 v80, v88, v80
	v_mul_f16_e32 v87, 0x388b, v58
	v_add_f16_e32 v77, v80, v77
	v_mul_f16_e32 v80, 0xb3a8, v68
	v_add_f16_e32 v70, v85, v70
	v_sub_f16_e32 v80, v91, v80
	v_mul_f16_e32 v88, 0x2fb7, v60
	v_add_f16_e32 v72, v87, v72
	v_add_f16_e32 v70, v70, v23
	;; [unrolled: 1-line block ×3, first 2 shown]
	v_mul_f16_e32 v80, 0xb5ac, v62
	v_add_f16_e32 v70, v72, v70
	v_add_f16_e32 v74, v88, v74
	v_mul_f16_e32 v85, 0xb9fd, v65
	v_add_f16_e32 v70, v74, v70
	v_add_f16_e32 v76, v80, v76
	;; [unrolled: 3-line block ×3, first 2 shown]
	v_add_f16_e32 v70, v79, v70
	v_add_f16_e32 v82, v87, v82
	;; [unrolled: 1-line block ×3, first 2 shown]
	v_fma_f16 v82, v57, s20, v104
	v_add_f16_sdwa v82, v82, v23 dst_sel:DWORD dst_unused:UNUSED_PAD src0_sel:DWORD src1_sel:WORD_1
	v_fma_f16 v87, v59, s24, v106
	v_add_f16_e32 v82, v87, v82
	v_fma_f16 v87, v61, s22, v107
	v_add_f16_e32 v82, v87, v82
	;; [unrolled: 2-line block ×5, first 2 shown]
	v_fma_f16 v87, v56, s17, -v111
	v_add_f16_e32 v87, v87, v23
	v_fma_f16 v91, v58, s4, -v113
	v_add_f16_e32 v87, v91, v87
	;; [unrolled: 2-line block ×6, first 2 shown]
	v_fma_f16 v91, v57, s22, v118
	v_add_f16_sdwa v91, v91, v23 dst_sel:DWORD dst_unused:UNUSED_PAD src0_sel:DWORD src1_sel:WORD_1
	v_fma_f16 v92, v59, s25, v120
	v_add_f16_e32 v91, v92, v91
	v_fma_f16 v92, v61, s14, v121
	v_add_f16_e32 v91, v92, v91
	;; [unrolled: 2-line block ×5, first 2 shown]
	v_fma_f16 v92, v56, s19, -v125
	v_add_f16_e32 v92, v92, v23
	v_fma_f16 v93, v58, s16, -v127
	v_add_f16_e32 v92, v93, v92
	;; [unrolled: 2-line block ×6, first 2 shown]
	v_fma_f16 v93, v57, s21, v132
	v_add_f16_sdwa v93, v93, v23 dst_sel:DWORD dst_unused:UNUSED_PAD src0_sel:DWORD src1_sel:WORD_1
	v_fma_f16 v96, v59, s23, v134
	v_add_f16_e32 v93, v96, v93
	v_fma_f16 v96, v61, s24, v135
	v_add_f16_e32 v93, v96, v93
	v_fma_f16 v96, v64, s18, v136
	v_add_f16_e32 v93, v96, v93
	v_fma_f16 v96, v66, s27, v137
	v_mul_f16_e32 v69, 0xbbf1, v69
	v_add_f16_e32 v93, v96, v93
	v_fma_f16 v96, v68, s28, v138
	v_fma_f16 v88, v56, s16, v69
	v_add_f16_e32 v93, v96, v93
	v_fma_f16 v96, v56, s15, -v139
	v_fma_f16 v57, v57, s18, v90
	v_fma_f16 v56, v56, s16, -v69
	v_alignbit_b32 v83, v23, v23, 16
	v_add_f16_e32 v96, v96, v23
	v_add_f16_sdwa v57, v57, v23 dst_sel:DWORD dst_unused:UNUSED_PAD src0_sel:DWORD src1_sel:WORD_1
	v_add_f16_e32 v56, v56, v23
	v_add_f16_sdwa v42, v42, v23 dst_sel:DWORD dst_unused:UNUSED_PAD src0_sel:DWORD src1_sel:WORD_1
	v_add_f16_e32 v23, v24, v23
	v_add_f16_e32 v42, v45, v42
	;; [unrolled: 1-line block ×21, first 2 shown]
	v_add_f16_sdwa v42, v47, v42 dst_sel:WORD_1 dst_unused:UNUSED_PAD src0_sel:DWORD src1_sel:DWORD
	v_add_f16_e32 v23, v44, v23
	v_mul_f16_e32 v71, 0xb3a8, v71
	v_or_b32_e32 v23, v42, v23
	v_lshlrev_b32_e32 v24, 2, v38
	v_pack_b32_f16 v26, v70, v77
	v_fma_f16 v74, v58, s17, v71
	v_mul_f16_e32 v73, 0x3b7b, v73
	ds_write2_b32 v24, v23, v26 offset1:1
	v_pack_b32_f16 v23, v86, v88
	v_fma_f16 v80, v60, s15, v73
	v_mul_f16_e32 v75, 0x3770, v75
	v_pk_add_f16 v23, v23, v83
	v_pack_b32_f16 v26, v89, v74
	v_fma_f16 v76, v62, s4, v75
	v_mul_f16_e32 v78, 0xba95, v78
	v_pk_add_f16 v23, v26, v23
	v_pack_b32_f16 v26, v95, v80
	v_fma_f16 v85, v65, s5, v78
	v_pk_add_f16 v23, v26, v23
	v_pack_b32_f16 v26, v98, v76
	v_mul_f16_e32 v81, 0xb94e, v81
	v_fma_f16 v99, v58, s19, -v141
	v_fma_f16 v58, v58, s17, -v71
	v_pk_add_f16 v23, v26, v23
	v_pack_b32_f16 v26, v101, v85
	v_mul_f16_e32 v72, 0x3770, v68
	v_mul_f16_sdwa v79, v67, s19 dst_sel:WORD_1 dst_unused:UNUSED_PAD src0_sel:DWORD src1_sel:DWORD
	v_add_f16_e32 v56, v58, v56
	v_fma_f16 v58, v60, s15, -v73
	v_pk_add_f16 v23, v26, v23
	v_lshlrev_b32_e32 v26, 16, v81
	v_add_f16_e32 v96, v99, v96
	v_fma_f16 v99, v60, s4, -v142
	v_add_f16_e32 v56, v58, v56
	v_fma_f16 v58, v62, s4, -v75
	v_pk_add_f16 v27, v63, v72 neg_lo:[0,1] neg_hi:[0,1]
	v_pk_add_f16 v26, v79, v26
	s_mov_b32 s4, 0xffff
	v_fma_f16 v59, v59, s20, v94
	v_bfi_b32 v26, s4, v27, v26
	v_add_f16_e32 v96, v99, v96
	v_fma_f16 v99, v62, s16, -v143
	v_add_f16_e32 v57, v59, v57
	v_fma_f16 v59, v61, s26, v97
	v_pk_add_f16 v23, v26, v23
	v_add_f16_e32 v96, v99, v96
	v_fma_f16 v99, v65, s17, -v144
	v_add_f16_e32 v57, v59, v57
	v_fma_f16 v59, v64, s24, v100
	v_alignbit_b32 v26, v146, v23, 16
	v_pack_b32_f16 v23, v84, v23
	v_add_f16_e32 v96, v99, v96
	v_fma_f16 v99, v67, s5, -v145
	v_add_f16_e32 v57, v59, v57
	v_fma_f16 v59, v66, s14, v102
	v_add_f16_e32 v56, v58, v56
	v_fma_f16 v58, v65, s5, -v78
	ds_write2_b32 v24, v23, v26 offset0:2 offset1:3
	v_pack_b32_f16 v23, v126, v119
	v_pack_b32_f16 v26, v140, v133
	v_add_f16_e32 v96, v99, v96
	v_add_f16_e32 v57, v59, v57
	v_fma_f16 v59, v68, s22, v103
	v_add_f16_e32 v56, v58, v56
	v_fma_f16 v58, v67, s19, -v81
	ds_write2_b32 v24, v26, v23 offset0:4 offset1:5
	v_pack_b32_f16 v23, v87, v82
	v_pack_b32_f16 v26, v112, v105
	v_add_f16_e32 v57, v59, v57
	v_add_f16_e32 v56, v58, v56
	ds_write2_b32 v24, v26, v23 offset0:6 offset1:7
	v_pack_b32_f16 v23, v96, v93
	v_pack_b32_f16 v26, v92, v91
	s_mov_b32 s4, 0x5040100
	ds_write2_b32 v24, v26, v23 offset0:8 offset1:9
	v_pack_b32_f16 v23, v56, v57
	v_perm_b32 v26, v40, v25, s4
	ds_write2_b32 v24, v23, v26 offset0:10 offset1:11
	v_perm_b32 v23, v43, v41, s4
	ds_write_b32 v24, v23 offset:48
.LBB0_17:
	s_or_b64 exec, exec, s[2:3]
	s_waitcnt lgkmcnt(0)
	s_barrier
	ds_read2_b32 v[26:27], v36 offset1:169
	v_add_u32_e32 v23, 0x400, v36
	ds_read2_b32 v[28:29], v23 offset0:82 offset1:251
	v_add_u32_e32 v24, 0xa00, v36
	ds_read2_b32 v[30:31], v24 offset0:36 offset1:205
	s_waitcnt lgkmcnt(2)
	v_lshrrev_b32_e32 v24, 16, v27
	v_mul_f16_sdwa v52, v0, v24 dst_sel:DWORD dst_unused:UNUSED_PAD src0_sel:WORD_1 src1_sel:DWORD
	s_waitcnt lgkmcnt(1)
	v_lshrrev_b32_e32 v38, 16, v28
	v_fma_f16 v52, v0, v27, v52
	v_mul_f16_sdwa v27, v0, v27 dst_sel:DWORD dst_unused:UNUSED_PAD src0_sel:WORD_1 src1_sel:DWORD
	v_fma_f16 v24, v0, v24, -v27
	v_mul_f16_sdwa v0, v1, v38 dst_sel:DWORD dst_unused:UNUSED_PAD src0_sel:WORD_1 src1_sel:DWORD
	v_lshrrev_b32_e32 v42, 16, v29
	v_add_u32_e32 v32, 0xf00, v36
	v_fma_f16 v27, v1, v28, v0
	v_mul_f16_sdwa v0, v1, v28 dst_sel:DWORD dst_unused:UNUSED_PAD src0_sel:WORD_1 src1_sel:DWORD
	ds_read2_b32 v[32:33], v32 offset0:54 offset1:223
	v_fma_f16 v1, v1, v38, -v0
	v_mul_f16_sdwa v0, v2, v42 dst_sel:DWORD dst_unused:UNUSED_PAD src0_sel:WORD_1 src1_sel:DWORD
	s_waitcnt lgkmcnt(1)
	v_lshrrev_b32_e32 v44, 16, v30
	v_fma_f16 v28, v2, v29, v0
	v_mul_f16_sdwa v0, v2, v29 dst_sel:DWORD dst_unused:UNUSED_PAD src0_sel:WORD_1 src1_sel:DWORD
	v_fma_f16 v2, v2, v42, -v0
	v_mul_f16_sdwa v0, v3, v44 dst_sel:DWORD dst_unused:UNUSED_PAD src0_sel:WORD_1 src1_sel:DWORD
	v_add_u32_e32 v34, 0x1400, v36
	v_lshrrev_b32_e32 v45, 16, v31
	v_fma_f16 v29, v3, v30, v0
	v_mul_f16_sdwa v0, v3, v30 dst_sel:DWORD dst_unused:UNUSED_PAD src0_sel:WORD_1 src1_sel:DWORD
	ds_read2_b32 v[34:35], v34 offset0:72 offset1:241
	v_fma_f16 v3, v3, v44, -v0
	v_mul_f16_sdwa v0, v4, v45 dst_sel:DWORD dst_unused:UNUSED_PAD src0_sel:WORD_1 src1_sel:DWORD
	s_waitcnt lgkmcnt(1)
	v_lshrrev_b32_e32 v47, 16, v32
	v_fma_f16 v30, v4, v31, v0
	v_mul_f16_sdwa v0, v4, v31 dst_sel:DWORD dst_unused:UNUSED_PAD src0_sel:WORD_1 src1_sel:DWORD
	v_fma_f16 v4, v4, v45, -v0
	v_mul_f16_sdwa v0, v5, v47 dst_sel:DWORD dst_unused:UNUSED_PAD src0_sel:WORD_1 src1_sel:DWORD
	v_lshrrev_b32_e32 v48, 16, v33
	v_fma_f16 v31, v5, v32, v0
	v_mul_f16_sdwa v0, v5, v32 dst_sel:DWORD dst_unused:UNUSED_PAD src0_sel:WORD_1 src1_sel:DWORD
	ds_read_b32 v46, v36 offset:6760
	v_fma_f16 v5, v5, v47, -v0
	v_mul_f16_sdwa v0, v6, v48 dst_sel:DWORD dst_unused:UNUSED_PAD src0_sel:WORD_1 src1_sel:DWORD
	s_waitcnt lgkmcnt(1)
	v_lshrrev_b32_e32 v49, 16, v34
	v_fma_f16 v32, v6, v33, v0
	v_mul_f16_sdwa v0, v6, v33 dst_sel:DWORD dst_unused:UNUSED_PAD src0_sel:WORD_1 src1_sel:DWORD
	v_fma_f16 v6, v6, v48, -v0
	v_mul_f16_sdwa v0, v7, v49 dst_sel:DWORD dst_unused:UNUSED_PAD src0_sel:WORD_1 src1_sel:DWORD
	v_lshrrev_b32_e32 v50, 16, v35
	v_fma_f16 v33, v7, v34, v0
	v_mul_f16_sdwa v0, v7, v34 dst_sel:DWORD dst_unused:UNUSED_PAD src0_sel:WORD_1 src1_sel:DWORD
	v_fma_f16 v7, v7, v49, -v0
	v_mul_f16_sdwa v0, v21, v50 dst_sel:DWORD dst_unused:UNUSED_PAD src0_sel:WORD_1 src1_sel:DWORD
	s_waitcnt lgkmcnt(0)
	v_lshrrev_b32_e32 v51, 16, v46
	v_fma_f16 v34, v21, v35, v0
	v_mul_f16_sdwa v0, v21, v35 dst_sel:DWORD dst_unused:UNUSED_PAD src0_sel:WORD_1 src1_sel:DWORD
	v_fma_f16 v21, v21, v50, -v0
	v_mul_f16_sdwa v0, v22, v51 dst_sel:DWORD dst_unused:UNUSED_PAD src0_sel:WORD_1 src1_sel:DWORD
	v_fma_f16 v35, v22, v46, v0
	v_mul_f16_sdwa v0, v22, v46 dst_sel:DWORD dst_unused:UNUSED_PAD src0_sel:WORD_1 src1_sel:DWORD
	v_fma_f16 v22, v22, v51, -v0
	v_add_f16_e32 v0, v52, v26
	v_add_f16_sdwa v38, v24, v26 dst_sel:DWORD dst_unused:UNUSED_PAD src0_sel:DWORD src1_sel:WORD_1
	v_add_f16_e32 v0, v0, v27
	v_add_f16_e32 v38, v38, v1
	;; [unrolled: 1-line block ×17, first 2 shown]
	v_add_f16_sdwa v38, v38, v22 dst_sel:WORD_1 dst_unused:UNUSED_PAD src0_sel:DWORD src1_sel:DWORD
	v_add_f16_e32 v42, v24, v22
	v_sub_f16_e32 v22, v24, v22
	v_or_b32_e32 v0, v38, v0
	v_add_f16_e32 v38, v52, v35
	v_sub_f16_e32 v35, v52, v35
	s_mov_b32 s15, 0xb853
	v_mul_f16_e32 v24, 0xb853, v22
	s_movk_i32 s16, 0x3abb
	v_mul_f16_e32 v45, 0x3abb, v42
	s_movk_i32 s17, 0x3853
	s_mov_b32 s3, 0xbb47
	v_mul_f16_e32 v47, 0xbb47, v22
	s_movk_i32 s4, 0x36a6
	v_mul_f16_e32 v49, 0x36a6, v42
	s_movk_i32 s5, 0x3b47
	s_mov_b32 s2, 0xbbeb
	v_mul_f16_e32 v51, 0xbbeb, v22
	s_mov_b32 s14, 0xb08e
	v_mul_f16_e32 v53, 0xb08e, v42
	s_movk_i32 s18, 0x3beb
	s_mov_b32 s19, 0xba0c
	v_mul_f16_e32 v55, 0xba0c, v22
	s_mov_b32 s20, 0xb93d
	;; [unrolled: 5-line block ×3, first 2 shown]
	v_mul_f16_e32 v42, 0xbbad, v42
	s_movk_i32 s24, 0x3482
	v_fma_f16 v44, v38, s16, v24
	v_fma_f16 v46, v35, s17, v45
	v_fma_f16 v24, v38, s16, -v24
	v_fma_f16 v45, v35, s15, v45
	v_fma_f16 v48, v38, s4, v47
	v_fma_f16 v50, v35, s5, v49
	v_fma_f16 v47, v38, s4, -v47
	v_fma_f16 v49, v35, s3, v49
	;; [unrolled: 4-line block ×5, first 2 shown]
	v_add_f16_e32 v38, v1, v21
	v_sub_f16_e32 v1, v1, v21
	v_add_f16_e32 v44, v44, v26
	v_add_f16_sdwa v46, v46, v26 dst_sel:DWORD dst_unused:UNUSED_PAD src0_sel:DWORD src1_sel:WORD_1
	v_add_f16_e32 v24, v24, v26
	v_add_f16_sdwa v45, v45, v26 dst_sel:DWORD dst_unused:UNUSED_PAD src0_sel:DWORD src1_sel:WORD_1
	v_add_f16_e32 v48, v48, v26
	v_add_f16_sdwa v50, v50, v26 dst_sel:DWORD dst_unused:UNUSED_PAD src0_sel:DWORD src1_sel:WORD_1
	v_add_f16_e32 v47, v47, v26
	v_add_f16_sdwa v49, v49, v26 dst_sel:DWORD dst_unused:UNUSED_PAD src0_sel:DWORD src1_sel:WORD_1
	v_add_f16_e32 v52, v52, v26
	v_add_f16_sdwa v54, v54, v26 dst_sel:DWORD dst_unused:UNUSED_PAD src0_sel:DWORD src1_sel:WORD_1
	v_add_f16_e32 v51, v51, v26
	v_add_f16_sdwa v53, v53, v26 dst_sel:DWORD dst_unused:UNUSED_PAD src0_sel:DWORD src1_sel:WORD_1
	v_add_f16_e32 v56, v56, v26
	v_add_f16_sdwa v58, v58, v26 dst_sel:DWORD dst_unused:UNUSED_PAD src0_sel:DWORD src1_sel:WORD_1
	v_add_f16_e32 v55, v55, v26
	v_add_f16_sdwa v57, v57, v26 dst_sel:DWORD dst_unused:UNUSED_PAD src0_sel:DWORD src1_sel:WORD_1
	v_add_f16_e32 v59, v59, v26
	v_add_f16_sdwa v60, v60, v26 dst_sel:DWORD dst_unused:UNUSED_PAD src0_sel:DWORD src1_sel:WORD_1
	v_add_f16_e32 v22, v22, v26
	v_add_f16_sdwa v26, v35, v26 dst_sel:DWORD dst_unused:UNUSED_PAD src0_sel:DWORD src1_sel:WORD_1
	v_add_f16_e32 v35, v27, v34
	v_mul_f16_e32 v21, 0xbb47, v1
	v_sub_f16_e32 v27, v27, v34
	v_fma_f16 v34, v35, s4, v21
	v_mul_f16_e32 v42, 0x36a6, v38
	v_fma_f16 v21, v35, s4, -v21
	v_add_f16_e32 v34, v34, v44
	v_fma_f16 v44, v27, s5, v42
	v_add_f16_e32 v21, v21, v24
	v_fma_f16 v24, v27, s3, v42
	v_mul_f16_e32 v42, 0xba0c, v1
	v_add_f16_e32 v44, v44, v46
	v_add_f16_e32 v24, v24, v45
	v_fma_f16 v45, v35, s20, v42
	v_mul_f16_e32 v46, 0xb93d, v38
	v_fma_f16 v42, v35, s20, -v42
	v_add_f16_e32 v45, v45, v48
	v_fma_f16 v48, v27, s21, v46
	v_add_f16_e32 v42, v42, v47
	v_fma_f16 v46, v27, s19, v46
	v_mul_f16_e32 v47, 0x3482, v1
	v_add_f16_e32 v48, v48, v50
	v_add_f16_e32 v46, v46, v49
	;; [unrolled: 10-line block ×3, first 2 shown]
	v_fma_f16 v53, v35, s14, v51
	v_mul_f16_e32 v54, 0xb08e, v38
	v_fma_f16 v51, v35, s14, -v51
	v_mul_f16_e32 v1, 0x3853, v1
	v_add_f16_e32 v53, v53, v56
	v_fma_f16 v56, v27, s2, v54
	v_add_f16_e32 v51, v51, v55
	v_fma_f16 v54, v27, s18, v54
	v_fma_f16 v55, v35, s16, v1
	v_mul_f16_e32 v38, 0x3abb, v38
	v_fma_f16 v1, v35, s16, -v1
	v_add_f16_e32 v54, v54, v57
	v_fma_f16 v57, v27, s15, v38
	v_add_f16_e32 v1, v1, v22
	v_fma_f16 v22, v27, s17, v38
	v_add_f16_e32 v27, v2, v7
	v_sub_f16_e32 v2, v2, v7
	v_add_f16_e32 v22, v22, v26
	v_add_f16_e32 v26, v28, v33
	v_mul_f16_e32 v7, 0xbbeb, v2
	v_sub_f16_e32 v28, v28, v33
	v_fma_f16 v33, v26, s14, v7
	v_add_f16_e32 v33, v33, v34
	v_mul_f16_e32 v34, 0xb08e, v27
	v_fma_f16 v7, v26, s14, -v7
	v_add_f16_e32 v7, v7, v21
	v_fma_f16 v21, v28, s2, v34
	v_add_f16_e32 v21, v21, v24
	v_mul_f16_e32 v24, 0x3482, v2
	v_fma_f16 v35, v28, s18, v34
	v_fma_f16 v34, v26, s23, v24
	v_fma_f16 v24, v26, s23, -v24
	v_mul_f16_e32 v38, 0xbbad, v27
	v_add_f16_e32 v24, v24, v42
	v_mul_f16_e32 v42, 0x3b47, v2
	v_add_f16_e32 v35, v35, v44
	v_add_f16_e32 v34, v34, v45
	v_fma_f16 v44, v28, s22, v38
	v_fma_f16 v38, v28, s24, v38
	v_fma_f16 v45, v26, s4, v42
	v_fma_f16 v42, v26, s4, -v42
	v_add_f16_e32 v38, v38, v46
	v_mul_f16_e32 v46, 0x36a6, v27
	v_add_f16_e32 v42, v42, v47
	v_mul_f16_e32 v47, 0xb853, v2
	v_add_f16_e32 v44, v44, v48
	v_add_f16_e32 v45, v45, v49
	v_fma_f16 v48, v28, s3, v46
	v_fma_f16 v46, v28, s5, v46
	;; [unrolled: 1-line block ×3, first 2 shown]
	v_fma_f16 v47, v26, s16, -v47
	v_mul_f16_e32 v2, 0xba0c, v2
	v_add_f16_e32 v46, v46, v50
	v_mul_f16_e32 v50, 0x3abb, v27
	v_add_f16_e32 v47, v47, v51
	v_fma_f16 v51, v26, s20, v2
	v_mul_f16_e32 v27, 0xb93d, v27
	v_fma_f16 v2, v26, s20, -v2
	v_add_f16_e32 v1, v2, v1
	v_fma_f16 v2, v28, s19, v27
	v_add_f16_e32 v26, v3, v6
	v_sub_f16_e32 v3, v3, v6
	v_add_f16_e32 v2, v2, v22
	v_add_f16_e32 v22, v29, v32
	v_mul_f16_e32 v6, 0xba0c, v3
	v_add_f16_e32 v48, v48, v52
	v_add_f16_e32 v49, v49, v53
	v_fma_f16 v52, v28, s17, v50
	v_fma_f16 v50, v28, s15, v50
	;; [unrolled: 1-line block ×3, first 2 shown]
	v_sub_f16_e32 v27, v29, v32
	v_fma_f16 v28, v22, s20, v6
	v_mul_f16_e32 v29, 0xb93d, v26
	v_fma_f16 v6, v22, s20, -v6
	v_add_f16_e32 v6, v6, v7
	v_fma_f16 v7, v27, s19, v29
	v_add_f16_e32 v7, v7, v21
	v_mul_f16_e32 v21, 0x3beb, v3
	v_add_f16_e32 v28, v28, v33
	v_fma_f16 v32, v27, s21, v29
	v_fma_f16 v29, v22, s14, v21
	v_mul_f16_e32 v33, 0xb08e, v26
	v_fma_f16 v21, v22, s14, -v21
	v_add_f16_e32 v21, v21, v24
	v_fma_f16 v24, v27, s18, v33
	v_add_f16_e32 v29, v29, v34
	v_fma_f16 v34, v27, s2, v33
	v_add_f16_e32 v33, v24, v38
	v_mul_f16_e32 v24, 0xb853, v3
	v_add_f16_e32 v44, v34, v44
	v_fma_f16 v34, v22, s16, v24
	v_add_f16_e32 v38, v34, v45
	v_mul_f16_e32 v34, 0x3abb, v26
	v_fma_f16 v24, v22, s16, -v24
	v_add_f16_e32 v42, v24, v42
	v_fma_f16 v24, v27, s15, v34
	v_add_f16_e32 v46, v24, v46
	v_mul_f16_e32 v24, 0xb482, v3
	v_add_f16_e32 v32, v32, v35
	v_fma_f16 v35, v27, s17, v34
	v_fma_f16 v34, v22, s23, v24
	v_add_f16_e32 v45, v35, v48
	v_add_f16_e32 v48, v34, v49
	v_mul_f16_e32 v34, 0xbbad, v26
	v_fma_f16 v24, v22, s23, -v24
	v_add_f16_e32 v55, v55, v59
	v_add_f16_e32 v50, v50, v54
	;; [unrolled: 1-line block ×3, first 2 shown]
	v_fma_f16 v24, v27, s22, v34
	v_mul_f16_e32 v3, 0x3b47, v3
	v_add_f16_e32 v56, v56, v58
	v_add_f16_e32 v51, v51, v55
	;; [unrolled: 1-line block ×3, first 2 shown]
	v_fma_f16 v24, v22, s4, v3
	v_add_f16_e32 v57, v57, v60
	v_add_f16_e32 v52, v52, v56
	v_fma_f16 v35, v27, s24, v34
	v_add_f16_e32 v51, v24, v51
	v_mul_f16_e32 v24, 0x36a6, v26
	v_fma_f16 v3, v22, s4, -v3
	v_add_f16_e32 v53, v53, v57
	v_add_f16_e32 v49, v35, v52
	v_fma_f16 v26, v27, s3, v24
	v_add_f16_e32 v52, v3, v1
	v_fma_f16 v1, v27, s5, v24
	v_sub_f16_e32 v22, v4, v5
	v_add_f16_e32 v26, v26, v53
	v_add_f16_e32 v53, v1, v2
	;; [unrolled: 1-line block ×4, first 2 shown]
	v_mul_f16_e32 v3, 0xb482, v22
	v_sub_f16_e32 v55, v30, v31
	v_fma_f16 v1, v2, s23, v3
	v_mul_f16_e32 v4, 0xbbad, v54
	v_fma_f16 v3, v2, s23, -v3
	v_add_f16_e32 v24, v3, v6
	v_fma_f16 v3, v55, s22, v4
	v_fma_f16 v5, v55, s24, v4
	v_add_f16_e32 v35, v3, v7
	v_mul_f16_e32 v3, 0x3853, v22
	v_add_f16_e32 v34, v5, v32
	v_fma_f16 v4, v2, s16, v3
	v_mul_f16_e32 v5, 0x3abb, v54
	v_fma_f16 v3, v2, s16, -v3
	v_add_f16_e32 v7, v3, v21
	v_fma_f16 v3, v55, s17, v5
	v_fma_f16 v6, v55, s15, v5
	v_add_f16_e32 v33, v3, v33
	v_mul_f16_e32 v3, 0xba0c, v22
	v_mul_f16_e32 v21, 0xb93d, v54
	v_add_f16_e32 v32, v6, v44
	v_fma_f16 v5, v2, s20, v3
	v_fma_f16 v6, v55, s21, v21
	v_fma_f16 v3, v2, s20, -v3
	v_add_f16_e32 v31, v6, v45
	v_add_f16_e32 v6, v3, v42
	v_fma_f16 v3, v55, s19, v21
	v_mul_f16_e32 v27, 0x36a6, v54
	v_add_f16_e32 v1, v1, v28
	v_add_f16_e32 v5, v5, v38
	;; [unrolled: 1-line block ×3, first 2 shown]
	v_mul_f16_e32 v3, 0x3b47, v22
	v_fma_f16 v28, v55, s3, v27
	v_mul_f16_e32 v38, 0xbbeb, v22
	v_mul_f16_e32 v42, 0xb08e, v54
	v_add_f16_e32 v4, v4, v29
	v_fma_f16 v21, v2, s4, v3
	v_add_f16_e32 v29, v28, v49
	v_fma_f16 v3, v2, s4, -v3
	v_fma_f16 v22, v2, s14, v38
	v_fma_f16 v28, v55, s18, v42
	v_fma_f16 v2, v2, s14, -v38
	v_pack_b32_f16 v38, v1, v34
	v_add_f16_e32 v21, v21, v48
	v_fma_f16 v27, v55, s5, v27
	v_add_f16_e32 v22, v22, v51
	v_add_f16_e32 v28, v28, v26
	v_fma_f16 v26, v55, s2, v42
	s_barrier
	ds_write2_b32 v39, v0, v38 offset1:13
	v_pack_b32_f16 v38, v4, v32
	v_pack_b32_f16 v42, v5, v31
	v_add_f16_e32 v3, v3, v47
	v_add_f16_e32 v27, v27, v50
	;; [unrolled: 1-line block ×4, first 2 shown]
	ds_write2_b32 v39, v38, v42 offset0:26 offset1:39
	v_pack_b32_f16 v38, v21, v29
	v_pack_b32_f16 v42, v22, v28
	ds_write2_b32 v39, v38, v42 offset0:52 offset1:65
	v_pack_b32_f16 v38, v2, v26
	v_pack_b32_f16 v42, v3, v27
	;; [unrolled: 3-line block ×3, first 2 shown]
	ds_write2_b32 v39, v38, v42 offset0:104 offset1:117
	v_pack_b32_f16 v38, v24, v35
	ds_write_b32 v39, v38 offset:520
	s_waitcnt lgkmcnt(0)
	s_barrier
	s_and_saveexec_b64 s[2:3], s[0:1]
	s_cbranch_execz .LBB0_19
; %bb.18:
	ds_read2_b32 v[0:1], v36 offset1:143
	ds_read2_b32 v[4:5], v23 offset0:30 offset1:173
	v_add_u32_e32 v2, 0x800, v36
	v_add_u32_e32 v3, 0xc00, v36
	;; [unrolled: 1-line block ×4, first 2 shown]
	ds_read2_b32 v[21:22], v2 offset0:60 offset1:203
	ds_read2_b32 v[2:3], v3 offset0:90 offset1:233
	;; [unrolled: 1-line block ×4, first 2 shown]
	ds_read_b32 v41, v36 offset:6864
	s_waitcnt lgkmcnt(6)
	v_lshrrev_b32_e32 v34, 16, v1
	s_waitcnt lgkmcnt(5)
	v_lshrrev_b32_e32 v32, 16, v4
	v_lshrrev_b32_e32 v31, 16, v5
	s_waitcnt lgkmcnt(4)
	v_lshrrev_b32_e32 v29, 16, v21
	;; [unrolled: 3-line block ×6, first 2 shown]
.LBB0_19:
	s_or_b64 exec, exec, s[2:3]
	s_and_saveexec_b64 s[2:3], s[0:1]
	s_cbranch_execz .LBB0_21
; %bb.20:
	v_mul_f16_sdwa v38, v12, v1 dst_sel:DWORD dst_unused:UNUSED_PAD src0_sel:WORD_1 src1_sel:DWORD
	v_mul_f16_sdwa v23, v19, v41 dst_sel:DWORD dst_unused:UNUSED_PAD src0_sel:WORD_1 src1_sel:DWORD
	v_fma_f16 v38, v12, v34, -v38
	v_mul_f16_sdwa v34, v12, v34 dst_sel:DWORD dst_unused:UNUSED_PAD src0_sel:WORD_1 src1_sel:DWORD
	v_fma_f16 v23, v19, v43, -v23
	v_fma_f16 v1, v12, v1, v34
	v_mul_f16_sdwa v12, v19, v43 dst_sel:DWORD dst_unused:UNUSED_PAD src0_sel:WORD_1 src1_sel:DWORD
	v_mul_f16_sdwa v43, v13, v4 dst_sel:DWORD dst_unused:UNUSED_PAD src0_sel:WORD_1 src1_sel:DWORD
	v_fma_f16 v12, v19, v41, v12
	v_mul_f16_sdwa v41, v18, v25 dst_sel:DWORD dst_unused:UNUSED_PAD src0_sel:WORD_1 src1_sel:DWORD
	v_fma_f16 v43, v13, v32, -v43
	v_mul_f16_sdwa v32, v13, v32 dst_sel:DWORD dst_unused:UNUSED_PAD src0_sel:WORD_1 src1_sel:DWORD
	v_add_f16_e32 v39, v23, v38
	v_fma_f16 v41, v18, v40, -v41
	v_fma_f16 v4, v13, v4, v32
	v_mul_f16_sdwa v13, v18, v40 dst_sel:DWORD dst_unused:UNUSED_PAD src0_sel:WORD_1 src1_sel:DWORD
	v_mul_f16_e32 v42, 0xbbc4, v39
	v_sub_f16_e32 v19, v1, v12
	s_movk_i32 s21, 0x33a8
	v_add_f16_e32 v44, v41, v43
	v_fma_f16 v13, v18, v25, v13
	v_fma_f16 v34, v19, s21, v42
	v_mul_f16_e32 v45, 0x3b15, v44
	v_sub_f16_e32 v18, v4, v13
	s_mov_b32 s15, 0xb770
	v_add_f16_sdwa v34, v34, v0 dst_sel:DWORD dst_unused:UNUSED_PAD src0_sel:DWORD src1_sel:WORD_1
	v_fma_f16 v25, v18, s15, v45
	v_add_f16_e32 v25, v25, v34
	v_mul_f16_sdwa v34, v14, v5 dst_sel:DWORD dst_unused:UNUSED_PAD src0_sel:WORD_1 src1_sel:DWORD
	v_mul_f16_sdwa v32, v17, v24 dst_sel:DWORD dst_unused:UNUSED_PAD src0_sel:WORD_1 src1_sel:DWORD
	v_fma_f16 v34, v14, v31, -v34
	v_mul_f16_sdwa v31, v14, v31 dst_sel:DWORD dst_unused:UNUSED_PAD src0_sel:WORD_1 src1_sel:DWORD
	v_fma_f16 v32, v17, v35, -v32
	v_fma_f16 v5, v14, v5, v31
	v_mul_f16_sdwa v14, v17, v35 dst_sel:DWORD dst_unused:UNUSED_PAD src0_sel:WORD_1 src1_sel:DWORD
	v_add_f16_e32 v40, v32, v34
	v_fma_f16 v14, v17, v24, v14
	v_mul_f16_e32 v46, 0xb9fd, v40
	v_sub_f16_e32 v17, v5, v14
	s_movk_i32 s19, 0x394e
	v_fma_f16 v24, v17, s19, v46
	v_mul_f16_sdwa v31, v15, v21 dst_sel:DWORD dst_unused:UNUSED_PAD src0_sel:WORD_1 src1_sel:DWORD
	v_add_f16_e32 v24, v24, v25
	v_mul_f16_sdwa v25, v16, v7 dst_sel:DWORD dst_unused:UNUSED_PAD src0_sel:WORD_1 src1_sel:DWORD
	v_fma_f16 v31, v15, v29, -v31
	v_mul_f16_sdwa v29, v15, v29 dst_sel:DWORD dst_unused:UNUSED_PAD src0_sel:WORD_1 src1_sel:DWORD
	v_fma_f16 v25, v16, v33, -v25
	v_fma_f16 v15, v15, v21, v29
	v_mul_f16_sdwa v21, v16, v33 dst_sel:DWORD dst_unused:UNUSED_PAD src0_sel:WORD_1 src1_sel:DWORD
	v_add_f16_e32 v35, v25, v31
	v_fma_f16 v7, v16, v7, v21
	v_mul_f16_e32 v47, 0x388b, v35
	v_sub_f16_e32 v16, v15, v7
	s_mov_b32 s18, 0xba95
	v_fma_f16 v21, v16, s18, v47
	v_mul_f16_sdwa v29, v8, v22 dst_sel:DWORD dst_unused:UNUSED_PAD src0_sel:WORD_1 src1_sel:DWORD
	v_add_f16_e32 v21, v21, v24
	v_mul_f16_sdwa v24, v11, v6 dst_sel:DWORD dst_unused:UNUSED_PAD src0_sel:WORD_1 src1_sel:DWORD
	v_fma_f16 v29, v8, v28, -v29
	v_mul_f16_sdwa v28, v8, v28 dst_sel:DWORD dst_unused:UNUSED_PAD src0_sel:WORD_1 src1_sel:DWORD
	v_fma_f16 v24, v11, v30, -v24
	v_fma_f16 v8, v8, v22, v28
	v_mul_f16_sdwa v22, v11, v30 dst_sel:DWORD dst_unused:UNUSED_PAD src0_sel:WORD_1 src1_sel:DWORD
	v_add_f16_e32 v33, v24, v29
	v_fma_f16 v6, v11, v6, v22
	v_mul_f16_e32 v48, 0xb5ac, v33
	v_sub_f16_e32 v11, v8, v6
	s_movk_i32 s27, 0x3b7b
	v_fma_f16 v22, v11, s27, v48
	v_mul_f16_sdwa v28, v9, v2 dst_sel:DWORD dst_unused:UNUSED_PAD src0_sel:WORD_1 src1_sel:DWORD
	v_add_f16_e32 v21, v22, v21
	v_mul_f16_sdwa v22, v10, v3 dst_sel:DWORD dst_unused:UNUSED_PAD src0_sel:WORD_1 src1_sel:DWORD
	v_fma_f16 v28, v9, v26, -v28
	v_mul_f16_sdwa v26, v9, v26 dst_sel:DWORD dst_unused:UNUSED_PAD src0_sel:WORD_1 src1_sel:DWORD
	v_fma_f16 v22, v10, v27, -v22
	v_fma_f16 v2, v9, v2, v26
	v_mul_f16_sdwa v9, v10, v27 dst_sel:DWORD dst_unused:UNUSED_PAD src0_sel:WORD_1 src1_sel:DWORD
	v_add_f16_e32 v30, v22, v28
	v_fma_f16 v3, v10, v3, v9
	v_mul_f16_e32 v49, 0x2fb7, v30
	v_sub_f16_e32 v9, v2, v3
	s_mov_b32 s23, 0xbbf1
	v_fma_f16 v10, v9, s23, v49
	v_sub_f16_e32 v26, v38, v23
	s_mov_b32 s4, 0xbbc4
	v_add_f16_e32 v10, v10, v21
	v_add_f16_e32 v21, v12, v1
	v_mul_f16_e32 v27, 0xb3a8, v26
	v_sub_f16_e32 v52, v43, v41
	s_movk_i32 s5, 0x3b15
	v_fma_f16 v50, v21, s4, v27
	v_add_f16_e32 v51, v13, v4
	v_mul_f16_e32 v53, 0x3770, v52
	v_add_f16_e32 v50, v50, v0
	v_fma_f16 v54, v51, s5, v53
	v_sub_f16_e32 v55, v34, v32
	s_mov_b32 s14, 0xb9fd
	v_add_f16_e32 v50, v54, v50
	v_add_f16_e32 v54, v14, v5
	v_mul_f16_e32 v56, 0xb94e, v55
	v_fma_f16 v57, v54, s14, v56
	v_sub_f16_e32 v58, v31, v25
	s_movk_i32 s16, 0x388b
	v_add_f16_e32 v50, v57, v50
	v_add_f16_e32 v57, v7, v15
	v_mul_f16_e32 v59, 0x3a95, v58
	v_fma_f16 v60, v57, s16, v59
	v_sub_f16_e32 v61, v29, v24
	s_mov_b32 s17, 0xb5ac
	v_add_f16_e32 v50, v60, v50
	v_add_f16_e32 v60, v6, v8
	v_mul_f16_e32 v62, 0xbb7b, v61
	v_fma_f16 v63, v60, s17, v62
	v_sub_f16_e32 v64, v28, v22
	s_movk_i32 s20, 0x2fb7
	v_add_f16_e32 v50, v63, v50
	v_add_f16_e32 v63, v3, v2
	v_mul_f16_e32 v65, 0x3bf1, v64
	v_fma_f16 v66, v63, s20, v65
	v_add_f16_e32 v50, v66, v50
	v_mul_f16_e32 v66, 0xb9fd, v39
	v_fma_f16 v67, v19, s19, v66
	v_mul_f16_e32 v68, 0x2fb7, v44
	v_add_f16_sdwa v67, v67, v0 dst_sel:DWORD dst_unused:UNUSED_PAD src0_sel:DWORD src1_sel:WORD_1
	v_fma_f16 v69, v18, s23, v68
	s_movk_i32 s29, 0x3a95
	v_add_f16_e32 v67, v69, v67
	v_mul_f16_e32 v69, 0x388b, v40
	v_fma_f16 v70, v17, s29, v69
	s_mov_b32 s22, 0xb3a8
	v_add_f16_e32 v67, v70, v67
	v_mul_f16_e32 v70, 0xbbc4, v35
	v_fma_f16 v71, v16, s22, v70
	v_add_f16_e32 v67, v71, v67
	v_mul_f16_e32 v71, 0x3b15, v33
	v_fma_f16 v72, v11, s15, v71
	;; [unrolled: 3-line block ×4, first 2 shown]
	v_mul_f16_e32 v75, 0x3bf1, v52
	v_add_f16_e32 v74, v74, v0
	v_fma_f16 v76, v51, s20, v75
	v_add_f16_e32 v74, v76, v74
	v_mul_f16_e32 v76, 0xba95, v55
	v_fma_f16 v77, v54, s16, v76
	v_add_f16_e32 v74, v77, v74
	v_mul_f16_e32 v77, 0x33a8, v58
	;; [unrolled: 3-line block ×5, first 2 shown]
	s_mov_b32 s24, 0xb94e
	v_fma_f16 v81, v19, s27, v80
	v_mul_f16_e32 v82, 0xb9fd, v44
	v_add_f16_sdwa v81, v81, v0 dst_sel:DWORD dst_unused:UNUSED_PAD src0_sel:DWORD src1_sel:WORD_1
	v_fma_f16 v83, v18, s24, v82
	v_add_f16_e32 v81, v83, v81
	v_mul_f16_e32 v83, 0x3b15, v40
	v_fma_f16 v84, v17, s15, v83
	s_movk_i32 s28, 0x3bf1
	v_add_f16_e32 v81, v84, v81
	v_mul_f16_e32 v84, 0x2fb7, v35
	v_fma_f16 v85, v16, s28, v84
	v_add_f16_e32 v81, v85, v81
	v_mul_f16_e32 v85, 0xbbc4, v33
	v_fma_f16 v86, v11, s22, v85
	;; [unrolled: 3-line block ×4, first 2 shown]
	v_mul_f16_e32 v89, 0x394e, v52
	v_add_f16_e32 v88, v88, v0
	v_fma_f16 v90, v51, s14, v89
	v_add_f16_e32 v88, v90, v88
	v_mul_f16_e32 v90, 0x3770, v55
	v_fma_f16 v91, v54, s5, v90
	v_add_f16_e32 v88, v91, v88
	v_mul_f16_e32 v91, 0xbbf1, v58
	v_fma_f16 v92, v57, s20, v91
	v_add_f16_e32 v88, v92, v88
	v_mul_f16_e32 v92, 0x33a8, v61
	s_movk_i32 s26, 0x3770
	v_fma_f16 v93, v60, s4, v92
	v_fma_f16 v42, v19, s22, v42
	v_add_f16_e32 v88, v93, v88
	v_mul_f16_e32 v93, 0x3a95, v64
	v_add_f16_sdwa v42, v42, v0 dst_sel:DWORD dst_unused:UNUSED_PAD src0_sel:DWORD src1_sel:WORD_1
	v_fma_f16 v45, v18, s26, v45
	v_fma_f16 v94, v63, s16, v93
	v_add_f16_e32 v42, v45, v42
	v_fma_f16 v45, v17, s24, v46
	s_mov_b32 s25, 0xbb7b
	v_add_f16_e32 v88, v94, v88
	v_mul_f16_e32 v94, 0x2fb7, v39
	v_add_f16_e32 v42, v45, v42
	v_fma_f16 v45, v16, s29, v47
	v_fma_f16 v95, v19, s28, v94
	v_mul_f16_e32 v96, 0xbbc4, v44
	v_add_f16_e32 v42, v45, v42
	v_fma_f16 v45, v11, s25, v48
	v_add_f16_sdwa v95, v95, v0 dst_sel:DWORD dst_unused:UNUSED_PAD src0_sel:DWORD src1_sel:WORD_1
	v_fma_f16 v97, v18, s21, v96
	v_add_f16_e32 v42, v45, v42
	v_fma_f16 v45, v9, s28, v49
	v_fma_f16 v27, v21, s4, -v27
	v_add_f16_e32 v95, v97, v95
	v_mul_f16_e32 v97, 0xb5ac, v40
	v_add_f16_e32 v42, v45, v42
	v_add_f16_e32 v27, v27, v0
	v_fma_f16 v45, v51, s5, -v53
	v_fma_f16 v98, v17, s25, v97
	v_add_f16_e32 v27, v45, v27
	v_fma_f16 v45, v54, s14, -v56
	v_add_f16_e32 v95, v98, v95
	v_mul_f16_e32 v98, 0x3b15, v35
	v_add_f16_e32 v27, v45, v27
	v_fma_f16 v45, v57, s16, -v59
	v_fma_f16 v99, v16, s15, v98
	v_add_f16_e32 v27, v45, v27
	v_fma_f16 v45, v60, s17, -v62
	v_add_f16_e32 v95, v99, v95
	v_mul_f16_e32 v99, 0x388b, v33
	v_add_f16_e32 v27, v45, v27
	v_fma_f16 v45, v63, s20, -v65
	v_fma_f16 v100, v11, s29, v99
	v_add_f16_e32 v27, v45, v27
	v_fma_f16 v45, v19, s24, v66
	v_add_f16_e32 v95, v100, v95
	v_mul_f16_e32 v100, 0xb9fd, v30
	v_add_f16_sdwa v45, v45, v0 dst_sel:DWORD dst_unused:UNUSED_PAD src0_sel:DWORD src1_sel:WORD_1
	v_fma_f16 v46, v18, s28, v68
	v_fma_f16 v101, v9, s19, v100
	v_add_f16_e32 v45, v46, v45
	v_fma_f16 v46, v17, s18, v69
	v_add_f16_e32 v95, v101, v95
	v_mul_f16_e32 v101, 0xbbf1, v26
	v_add_f16_e32 v45, v46, v45
	v_fma_f16 v46, v16, s21, v70
	v_fma_f16 v102, v21, s20, v101
	v_mul_f16_e32 v103, 0xb3a8, v52
	v_add_f16_e32 v45, v46, v45
	v_fma_f16 v46, v11, s26, v71
	v_add_f16_e32 v102, v102, v0
	v_fma_f16 v104, v51, s4, v103
	;; [unrolled: 2-line block ×3, first 2 shown]
	v_add_f16_e32 v102, v104, v102
	v_mul_f16_e32 v104, 0x3b7b, v55
	v_add_f16_e32 v45, v46, v45
	v_fma_f16 v46, v21, s14, -v73
	v_fma_f16 v105, v54, s17, v104
	v_add_f16_e32 v46, v46, v0
	v_fma_f16 v47, v51, s20, -v75
	v_add_f16_e32 v102, v105, v102
	v_mul_f16_e32 v105, 0x3770, v58
	v_add_f16_e32 v46, v47, v46
	v_fma_f16 v47, v54, s16, -v76
	v_fma_f16 v106, v57, s5, v105
	v_add_f16_e32 v46, v47, v46
	v_fma_f16 v47, v57, s4, -v77
	;; [unrolled: 7-line block ×3, first 2 shown]
	v_add_f16_e32 v102, v107, v102
	v_mul_f16_e32 v107, 0xb94e, v64
	v_add_f16_e32 v46, v47, v46
	v_fma_f16 v47, v19, s25, v80
	v_fma_f16 v108, v63, s14, v107
	v_add_f16_sdwa v47, v47, v0 dst_sel:DWORD dst_unused:UNUSED_PAD src0_sel:DWORD src1_sel:WORD_1
	v_fma_f16 v48, v18, s19, v82
	v_add_f16_e32 v102, v108, v102
	v_mul_f16_e32 v108, 0x388b, v39
	v_add_f16_e32 v47, v48, v47
	v_fma_f16 v48, v17, s26, v83
	v_fma_f16 v109, v19, s29, v108
	v_mul_f16_e32 v110, 0xb5ac, v44
	v_add_f16_e32 v47, v48, v47
	v_fma_f16 v48, v16, s23, v84
	v_add_f16_sdwa v109, v109, v0 dst_sel:DWORD dst_unused:UNUSED_PAD src0_sel:DWORD src1_sel:WORD_1
	v_fma_f16 v111, v18, s27, v110
	v_add_f16_e32 v47, v48, v47
	v_fma_f16 v48, v11, s21, v85
	v_add_f16_e32 v109, v111, v109
	v_mul_f16_e32 v111, 0xbbc4, v40
	v_add_f16_e32 v47, v48, v47
	v_fma_f16 v48, v9, s29, v86
	v_fma_f16 v112, v17, s21, v111
	v_add_f16_e32 v47, v48, v47
	v_fma_f16 v48, v21, s17, -v87
	v_add_f16_e32 v109, v112, v109
	v_mul_f16_e32 v112, 0xb9fd, v35
	v_add_f16_e32 v48, v48, v0
	v_fma_f16 v49, v51, s14, -v89
	v_fma_f16 v113, v16, s24, v112
	v_add_f16_e32 v48, v49, v48
	v_fma_f16 v49, v54, s5, -v90
	v_add_f16_e32 v109, v113, v109
	v_mul_f16_e32 v113, 0x2fb7, v33
	v_add_f16_e32 v48, v49, v48
	v_fma_f16 v49, v57, s20, -v91
	;; [unrolled: 7-line block ×3, first 2 shown]
	v_fma_f16 v115, v9, s15, v114
	v_add_f16_e32 v48, v49, v48
	v_fma_f16 v49, v19, s23, v94
	v_add_f16_e32 v109, v115, v109
	v_mul_f16_e32 v115, 0xba95, v26
	v_add_f16_sdwa v49, v49, v0 dst_sel:DWORD dst_unused:UNUSED_PAD src0_sel:DWORD src1_sel:WORD_1
	v_fma_f16 v53, v18, s22, v96
	v_fma_f16 v116, v21, s16, v115
	v_mul_f16_e32 v117, 0xbb7b, v52
	v_add_f16_e32 v49, v53, v49
	v_fma_f16 v53, v17, s27, v97
	v_add_f16_e32 v116, v116, v0
	v_fma_f16 v118, v51, s17, v117
	;; [unrolled: 2-line block ×3, first 2 shown]
	v_add_f16_e32 v116, v118, v116
	v_mul_f16_e32 v118, 0xb3a8, v55
	v_add_f16_e32 v49, v53, v49
	v_fma_f16 v53, v11, s18, v99
	v_fma_f16 v119, v54, s4, v118
	v_add_f16_e32 v49, v53, v49
	v_fma_f16 v53, v9, s24, v100
	v_add_f16_e32 v116, v119, v116
	v_mul_f16_e32 v119, 0x394e, v58
	v_add_f16_e32 v49, v53, v49
	v_fma_f16 v53, v21, s20, -v101
	v_fma_f16 v120, v57, s14, v119
	v_add_f16_e32 v53, v53, v0
	v_fma_f16 v56, v51, s4, -v103
	v_add_f16_e32 v116, v120, v116
	v_mul_f16_e32 v120, 0x3bf1, v61
	v_add_f16_e32 v53, v56, v53
	v_fma_f16 v56, v54, s17, -v104
	v_fma_f16 v121, v60, s20, v120
	v_add_f16_e32 v53, v56, v53
	v_fma_f16 v56, v57, s5, -v105
	v_add_f16_e32 v116, v121, v116
	v_mul_f16_e32 v121, 0x3770, v64
	v_add_f16_e32 v53, v56, v53
	v_fma_f16 v56, v60, s16, -v106
	v_fma_f16 v122, v63, s5, v121
	v_mul_f16_e32 v39, 0x3b15, v39
	v_add_f16_e32 v53, v56, v53
	v_fma_f16 v56, v63, s14, -v107
	v_add_f16_e32 v116, v122, v116
	v_fma_f16 v122, v19, s26, v39
	v_mul_f16_e32 v44, 0x388b, v44
	v_add_f16_e32 v53, v56, v53
	v_fma_f16 v56, v19, s18, v108
	v_fma_f16 v19, v19, s15, v39
	v_add_f16_sdwa v122, v122, v0 dst_sel:DWORD dst_unused:UNUSED_PAD src0_sel:DWORD src1_sel:WORD_1
	v_fma_f16 v123, v18, s29, v44
	v_mul_f16_e32 v40, 0x2fb7, v40
	v_add_f16_sdwa v56, v56, v0 dst_sel:DWORD dst_unused:UNUSED_PAD src0_sel:DWORD src1_sel:WORD_1
	v_fma_f16 v59, v18, s25, v110
	v_add_f16_sdwa v19, v19, v0 dst_sel:DWORD dst_unused:UNUSED_PAD src0_sel:DWORD src1_sel:WORD_1
	v_fma_f16 v18, v18, s18, v44
	v_add_f16_e32 v122, v123, v122
	v_fma_f16 v123, v17, s28, v40
	v_mul_f16_e32 v35, 0xb5ac, v35
	v_add_f16_e32 v56, v59, v56
	v_fma_f16 v59, v17, s22, v111
	v_add_f16_e32 v18, v18, v19
	v_fma_f16 v17, v17, s23, v40
	v_add_f16_e32 v122, v123, v122
	v_fma_f16 v123, v16, s27, v35
	v_mul_f16_e32 v33, 0xb9fd, v33
	v_add_f16_e32 v56, v59, v56
	v_fma_f16 v59, v16, s19, v112
	v_add_f16_e32 v17, v17, v18
	;; [unrolled: 7-line block ×4, first 2 shown]
	v_fma_f16 v9, v9, s22, v30
	v_mul_f16_e32 v52, 0xba95, v52
	v_add_f16_e32 v9, v9, v11
	v_fma_f16 v11, v21, s5, -v26
	v_mul_f16_e32 v55, 0xbbf1, v55
	v_add_f16_e32 v11, v11, v0
	v_fma_f16 v16, v51, s16, -v52
	;; [unrolled: 3-line block ×5, first 2 shown]
	v_add_f16_e32 v122, v123, v122
	v_fma_f16 v123, v21, s5, v26
	v_add_f16_e32 v56, v59, v56
	v_fma_f16 v59, v21, s16, -v115
	v_add_f16_e32 v11, v16, v11
	v_fma_f16 v16, v63, s4, -v64
	v_add_f16_e32 v123, v123, v0
	v_add_f16_e32 v59, v59, v0
	;; [unrolled: 1-line block ×3, first 2 shown]
	v_add_f16_sdwa v16, v38, v0 dst_sel:DWORD dst_unused:UNUSED_PAD src0_sel:DWORD src1_sel:WORD_1
	v_add_f16_e32 v0, v1, v0
	v_add_f16_e32 v16, v43, v16
	;; [unrolled: 1-line block ×11, first 2 shown]
	v_fma_f16 v124, v51, s16, v52
	v_add_f16_e32 v16, v22, v16
	v_add_f16_e32 v0, v3, v0
	v_add_f16_e32 v123, v124, v123
	v_fma_f16 v124, v54, s20, v55
	v_add_f16_e32 v16, v24, v16
	v_add_f16_e32 v0, v6, v0
	v_add_f16_e32 v123, v124, v123
	;; [unrolled: 4-line block ×5, first 2 shown]
	v_fma_f16 v62, v51, s17, -v117
	v_add_f16_sdwa v16, v23, v16 dst_sel:WORD_1 dst_unused:UNUSED_PAD src0_sel:DWORD src1_sel:DWORD
	v_add_f16_e32 v0, v12, v0
	v_add_f16_e32 v59, v62, v59
	v_fma_f16 v62, v54, s4, -v118
	v_or_b32_e32 v0, v16, v0
	v_pack_b32_f16 v1, v123, v122
	v_add_f16_e32 v59, v62, v59
	v_fma_f16 v62, v57, s14, -v119
	ds_write2_b32 v36, v0, v1 offset1:143
	v_pack_b32_f16 v0, v116, v109
	v_pack_b32_f16 v1, v102, v95
	v_add_u32_e32 v2, 0x400, v36
	v_add_f16_e32 v59, v62, v59
	v_fma_f16 v62, v60, s20, -v120
	ds_write2_b32 v2, v0, v1 offset0:30 offset1:173
	v_pack_b32_f16 v0, v88, v81
	v_pack_b32_f16 v1, v74, v67
	v_add_u32_e32 v2, 0x800, v36
	v_add_f16_e32 v59, v62, v59
	v_fma_f16 v62, v63, s5, -v121
	ds_write2_b32 v2, v0, v1 offset0:60 offset1:203
	v_pack_b32_f16 v0, v50, v10
	v_pack_b32_f16 v1, v27, v42
	v_add_u32_e32 v2, 0xc00, v36
	v_add_f16_e32 v59, v62, v59
	ds_write2_b32 v2, v0, v1 offset0:90 offset1:233
	v_pack_b32_f16 v0, v46, v45
	v_pack_b32_f16 v1, v48, v47
	v_add_u32_e32 v2, 0x1100, v36
	ds_write2_b32 v2, v0, v1 offset0:56 offset1:199
	v_pack_b32_f16 v0, v53, v49
	v_pack_b32_f16 v1, v59, v56
	v_add_u32_e32 v2, 0x1600, v36
	ds_write2_b32 v2, v0, v1 offset0:22 offset1:165
	v_pack_b32_f16 v0, v11, v9
	ds_write_b32 v36, v0 offset:6864
.LBB0_21:
	s_or_b64 exec, exec, s[2:3]
	s_waitcnt lgkmcnt(0)
	s_barrier
	s_and_b64 exec, exec, s[0:1]
	s_cbranch_execz .LBB0_23
; %bb.22:
	global_load_dword v9, v36, s[6:7]
	ds_read_b32 v10, v36
	global_load_dword v8, v36, s[6:7] offset:572
	global_load_dword v11, v36, s[6:7] offset:1144
	;; [unrolled: 1-line block ×6, first 2 shown]
	s_mov_b32 s14, 0x2ab08acf
	s_mov_b32 s15, 0x3f41a06e
	v_mad_u64_u32 v[0:1], s[0:1], s10, v20, 0
	s_waitcnt lgkmcnt(0)
	v_lshrrev_b32_e32 v17, 16, v10
	v_mad_u64_u32 v[2:3], s[0:1], s8, v37, 0
	v_mov_b32_e32 v6, s7
	s_movk_i32 s10, 0x1ff
	v_mad_u64_u32 v[19:20], s[0:1], s11, v20, v[1:2]
	v_mov_b32_e32 v4, 0x7c00
	v_add_co_u32_e32 v5, vcc, s6, v36
	v_addc_co_u32_e32 v6, vcc, 0, v6, vcc
	v_mad_u64_u32 v[20:21], s[0:1], s9, v37, v[3:4]
	s_movk_i32 s16, 0xffe
	v_mov_b32_e32 v1, v19
	v_add_u32_e32 v15, 0x200, v36
	ds_read2_b32 v[15:16], v15 offset0:15 offset1:158
	s_movk_i32 s17, 0x40f
	s_mov_b32 s18, 0x8000
	v_lshlrev_b64 v[0:1], 2, v[0:1]
	s_movk_i32 s19, 0x1000
	s_waitcnt lgkmcnt(0)
	v_lshrrev_b32_e32 v21, 16, v15
	s_waitcnt vmcnt(6)
	v_mul_f16_sdwa v18, v17, v9 dst_sel:DWORD dst_unused:UNUSED_PAD src0_sel:DWORD src1_sel:WORD_1
	v_fma_f16 v18, v10, v9, v18
	v_mul_f16_sdwa v10, v10, v9 dst_sel:DWORD dst_unused:UNUSED_PAD src0_sel:DWORD src1_sel:WORD_1
	v_cvt_f32_f16_e32 v18, v18
	v_fma_f16 v9, v9, v17, -v10
	v_cvt_f32_f16_e32 v17, v9
	v_cvt_f64_f32_e32 v[9:10], v18
	v_cvt_f64_f32_e32 v[17:18], v17
	v_mul_f64 v[9:10], v[9:10], s[14:15]
	v_mul_f64 v[17:18], v[17:18], s[14:15]
	v_and_or_b32 v3, v10, s10, v9
	v_cmp_ne_u32_e32 vcc, 0, v3
	v_and_or_b32 v17, v18, s10, v17
	v_lshrrev_b32_e32 v9, 8, v10
	v_bfe_u32 v19, v10, 20, 11
	v_cndmask_b32_e64 v3, 0, 1, vcc
	v_cmp_ne_u32_e32 vcc, 0, v17
	v_lshrrev_b32_e32 v22, 8, v18
	v_bfe_u32 v23, v18, 20, 11
	v_sub_u32_e32 v24, 0x3f1, v19
	v_cndmask_b32_e64 v17, 0, 1, vcc
	v_and_or_b32 v3, v9, s16, v3
	v_sub_u32_e32 v25, 0x3f1, v23
	v_med3_i32 v9, v24, 0, 13
	v_and_or_b32 v17, v22, s16, v17
	v_or_b32_e32 v24, 0x1000, v3
	v_add_u32_e32 v19, 0xfffffc10, v19
	v_med3_i32 v22, v25, 0, 13
	v_cmp_ne_u32_e32 vcc, 0, v3
	v_or_b32_e32 v26, 0x1000, v17
	v_lshrrev_b32_e32 v28, v9, v24
	v_add_u32_e32 v23, 0xfffffc10, v23
	v_lshl_or_b32 v25, v19, 12, v3
	v_cndmask_b32_e64 v3, 0, 1, vcc
	v_cmp_ne_u32_e32 vcc, 0, v17
	v_lshrrev_b32_e32 v29, v22, v26
	v_lshlrev_b32_e32 v9, v9, v28
	v_lshl_or_b32 v27, v23, 12, v17
	v_cndmask_b32_e64 v17, 0, 1, vcc
	v_lshlrev_b32_e32 v22, v22, v29
	v_cmp_ne_u32_e32 vcc, v9, v24
	v_cndmask_b32_e64 v9, 0, 1, vcc
	v_cmp_ne_u32_e32 vcc, v22, v26
	v_cndmask_b32_e64 v22, 0, 1, vcc
	v_or_b32_e32 v9, v28, v9
	v_cmp_gt_i32_e32 vcc, 1, v19
	v_cndmask_b32_e32 v9, v25, v9, vcc
	v_or_b32_e32 v22, v29, v22
	v_cmp_gt_i32_e32 vcc, 1, v23
	v_and_b32_e32 v24, 7, v9
	v_cndmask_b32_e32 v22, v27, v22, vcc
	v_cmp_lt_i32_e32 vcc, 5, v24
	v_cmp_eq_u32_e64 s[0:1], 3, v24
	v_lshrrev_b32_e32 v9, 2, v9
	v_and_b32_e32 v25, 7, v22
	s_or_b64 vcc, s[0:1], vcc
	v_cmp_lt_i32_e64 s[2:3], 5, v25
	v_cmp_eq_u32_e64 s[4:5], 3, v25
	v_addc_co_u32_e32 v9, vcc, 0, v9, vcc
	v_lshrrev_b32_e32 v22, 2, v22
	s_or_b64 vcc, s[4:5], s[2:3]
	v_addc_co_u32_e32 v22, vcc, 0, v22, vcc
	v_cmp_gt_i32_e32 vcc, 31, v19
	v_cndmask_b32_e32 v9, v4, v9, vcc
	v_cmp_gt_i32_e32 vcc, 31, v23
	v_lshl_or_b32 v3, v3, 9, v4
	v_cndmask_b32_e32 v22, v4, v22, vcc
	v_cmp_eq_u32_e32 vcc, s17, v19
	v_lshrrev_b32_e32 v10, 16, v10
	v_cndmask_b32_e32 v3, v9, v3, vcc
	v_and_or_b32 v10, v10, s18, v3
	s_waitcnt vmcnt(5)
	v_mul_f16_sdwa v3, v21, v8 dst_sel:DWORD dst_unused:UNUSED_PAD src0_sel:DWORD src1_sel:WORD_1
	v_lshl_or_b32 v17, v17, 9, v4
	v_cmp_eq_u32_e32 vcc, s17, v23
	v_fma_f16 v3, v15, v8, v3
	v_cndmask_b32_e32 v9, v22, v17, vcc
	v_cvt_f32_f16_e32 v17, v3
	v_lshrrev_b32_e32 v18, 16, v18
	v_and_or_b32 v18, v18, s18, v9
	v_and_b32_e32 v19, 0xffff, v10
	v_cvt_f64_f32_e32 v[9:10], v17
	v_mov_b32_e32 v3, v20
	v_lshl_or_b32 v17, v18, 16, v19
	v_mov_b32_e32 v18, s13
	v_mul_f64 v[9:10], v[9:10], s[14:15]
	v_add_co_u32_e32 v19, vcc, s12, v0
	v_addc_co_u32_e32 v18, vcc, v18, v1, vcc
	v_lshlrev_b64 v[0:1], 2, v[2:3]
	v_mul_f16_sdwa v15, v15, v8 dst_sel:DWORD dst_unused:UNUSED_PAD src0_sel:DWORD src1_sel:WORD_1
	v_add_co_u32_e32 v0, vcc, v19, v0
	v_addc_co_u32_e32 v1, vcc, v18, v1, vcc
	v_and_or_b32 v2, v10, s10, v9
	v_cmp_ne_u32_e32 vcc, 0, v2
	v_cndmask_b32_e64 v2, 0, 1, vcc
	v_lshrrev_b32_e32 v3, 8, v10
	v_and_or_b32 v9, v3, s16, v2
	v_bfe_u32 v3, v10, 20, 11
	global_store_dword v[0:1], v17, off
	v_sub_u32_e32 v17, 0x3f1, v3
	v_or_b32_e32 v2, 0x1000, v9
	v_med3_i32 v17, v17, 0, 13
	v_lshrrev_b32_e32 v18, v17, v2
	v_lshlrev_b32_e32 v17, v17, v18
	v_cmp_ne_u32_e32 vcc, v17, v2
	v_fma_f16 v8, v8, v21, -v15
	v_cndmask_b32_e64 v2, 0, 1, vcc
	v_add_u32_e32 v17, 0xfffffc10, v3
	v_cvt_f32_f16_e32 v8, v8
	v_or_b32_e32 v2, v18, v2
	v_lshl_or_b32 v3, v17, 12, v9
	v_cmp_gt_i32_e32 vcc, 1, v17
	v_cndmask_b32_e32 v2, v3, v2, vcc
	v_and_b32_e32 v3, 7, v2
	v_cmp_lt_i32_e32 vcc, 5, v3
	v_cmp_eq_u32_e64 s[0:1], 3, v3
	v_lshrrev_b32_e32 v15, 2, v2
	v_cvt_f64_f32_e32 v[2:3], v8
	s_or_b64 vcc, s[0:1], vcc
	v_addc_co_u32_e32 v8, vcc, 0, v15, vcc
	v_mul_f64 v[2:3], v[2:3], s[14:15]
	v_cmp_gt_i32_e32 vcc, 31, v17
	v_cndmask_b32_e32 v8, v4, v8, vcc
	v_cmp_ne_u32_e32 vcc, 0, v9
	v_cndmask_b32_e64 v9, 0, 1, vcc
	v_lshl_or_b32 v9, v9, 9, v4
	v_cmp_eq_u32_e32 vcc, s17, v17
	v_cndmask_b32_e32 v8, v8, v9, vcc
	v_and_or_b32 v2, v3, s10, v2
	v_lshrrev_b32_e32 v9, 16, v10
	v_cmp_ne_u32_e32 vcc, 0, v2
	v_and_or_b32 v8, v9, s18, v8
	v_cndmask_b32_e64 v2, 0, 1, vcc
	v_lshrrev_b32_e32 v9, 8, v3
	v_bfe_u32 v10, v3, 20, 11
	v_and_or_b32 v2, v9, s16, v2
	v_sub_u32_e32 v15, 0x3f1, v10
	v_or_b32_e32 v9, 0x1000, v2
	v_med3_i32 v15, v15, 0, 13
	v_lshrrev_b32_e32 v17, v15, v9
	v_lshlrev_b32_e32 v15, v15, v17
	v_cmp_ne_u32_e32 vcc, v15, v9
	v_cndmask_b32_e64 v9, 0, 1, vcc
	v_add_u32_e32 v10, 0xfffffc10, v10
	v_or_b32_e32 v9, v17, v9
	v_lshl_or_b32 v15, v10, 12, v2
	v_cmp_gt_i32_e32 vcc, 1, v10
	v_cndmask_b32_e32 v9, v15, v9, vcc
	v_and_b32_e32 v15, 7, v9
	v_cmp_lt_i32_e32 vcc, 5, v15
	v_cmp_eq_u32_e64 s[0:1], 3, v15
	v_lshrrev_b32_e32 v9, 2, v9
	s_or_b64 vcc, s[0:1], vcc
	v_addc_co_u32_e32 v9, vcc, 0, v9, vcc
	v_cmp_gt_i32_e32 vcc, 31, v10
	v_cndmask_b32_e32 v9, v4, v9, vcc
	v_cmp_ne_u32_e32 vcc, 0, v2
	v_cndmask_b32_e64 v2, 0, 1, vcc
	v_lshl_or_b32 v2, v2, 9, v4
	v_cmp_eq_u32_e32 vcc, s17, v10
	v_cndmask_b32_e32 v2, v9, v2, vcc
	v_lshrrev_b32_e32 v9, 16, v16
	s_waitcnt vmcnt(5)
	v_mul_f16_sdwa v10, v9, v11 dst_sel:DWORD dst_unused:UNUSED_PAD src0_sel:DWORD src1_sel:WORD_1
	v_fma_f16 v10, v16, v11, v10
	v_cvt_f32_f16_e32 v10, v10
	v_lshrrev_b32_e32 v3, 16, v3
	v_and_or_b32 v2, v3, s18, v2
	v_and_b32_e32 v3, 0xffff, v8
	v_lshl_or_b32 v8, v2, 16, v3
	v_cvt_f64_f32_e32 v[2:3], v10
	s_mul_i32 s0, s9, 0x23c
	s_mul_hi_u32 s2, s8, 0x23c
	s_add_i32 s2, s2, s0
	v_mul_f64 v[2:3], v[2:3], s[14:15]
	s_mul_i32 s3, s8, 0x23c
	v_mov_b32_e32 v10, s2
	v_add_co_u32_e32 v0, vcc, s3, v0
	v_addc_co_u32_e32 v1, vcc, v1, v10, vcc
	global_store_dword v[0:1], v8, off
	v_and_or_b32 v2, v3, s10, v2
	v_cmp_ne_u32_e32 vcc, 0, v2
	v_cndmask_b32_e64 v2, 0, 1, vcc
	v_lshrrev_b32_e32 v8, 8, v3
	v_bfe_u32 v10, v3, 20, 11
	v_and_or_b32 v2, v8, s16, v2
	v_sub_u32_e32 v15, 0x3f1, v10
	v_or_b32_e32 v8, 0x1000, v2
	v_med3_i32 v15, v15, 0, 13
	v_lshrrev_b32_e32 v17, v15, v8
	v_mul_f16_sdwa v16, v16, v11 dst_sel:DWORD dst_unused:UNUSED_PAD src0_sel:DWORD src1_sel:WORD_1
	v_lshlrev_b32_e32 v15, v15, v17
	v_fma_f16 v9, v11, v9, -v16
	v_cmp_ne_u32_e32 vcc, v15, v8
	v_cvt_f32_f16_e32 v9, v9
	v_cndmask_b32_e64 v8, 0, 1, vcc
	v_add_u32_e32 v10, 0xfffffc10, v10
	v_or_b32_e32 v8, v17, v8
	v_lshl_or_b32 v15, v10, 12, v2
	v_cmp_gt_i32_e32 vcc, 1, v10
	v_cndmask_b32_e32 v8, v15, v8, vcc
	v_and_b32_e32 v15, 7, v8
	v_lshrrev_b32_e32 v11, 2, v8
	v_cvt_f64_f32_e32 v[8:9], v9
	v_cmp_lt_i32_e32 vcc, 5, v15
	v_cmp_eq_u32_e64 s[0:1], 3, v15
	s_or_b64 vcc, s[0:1], vcc
	v_mul_f64 v[8:9], v[8:9], s[14:15]
	v_addc_co_u32_e32 v11, vcc, 0, v11, vcc
	v_cmp_gt_i32_e32 vcc, 31, v10
	v_cndmask_b32_e32 v11, v4, v11, vcc
	v_cmp_ne_u32_e32 vcc, 0, v2
	v_cndmask_b32_e64 v2, 0, 1, vcc
	v_lshl_or_b32 v2, v2, 9, v4
	v_cmp_eq_u32_e32 vcc, s17, v10
	v_cndmask_b32_e32 v2, v11, v2, vcc
	v_lshrrev_b32_e32 v3, 16, v3
	v_and_or_b32 v15, v3, s18, v2
	v_and_or_b32 v2, v9, s10, v8
	v_cmp_ne_u32_e32 vcc, 0, v2
	v_cndmask_b32_e64 v2, 0, 1, vcc
	v_lshrrev_b32_e32 v3, 8, v9
	v_and_or_b32 v8, v3, s16, v2
	v_bfe_u32 v3, v9, 20, 11
	v_sub_u32_e32 v10, 0x3f1, v3
	v_or_b32_e32 v2, 0x1000, v8
	v_med3_i32 v10, v10, 0, 13
	v_lshrrev_b32_e32 v11, v10, v2
	v_lshlrev_b32_e32 v10, v10, v11
	v_cmp_ne_u32_e32 vcc, v10, v2
	v_cndmask_b32_e64 v2, 0, 1, vcc
	v_add_u32_e32 v10, 0xfffffc10, v3
	v_or_b32_e32 v2, v11, v2
	v_lshl_or_b32 v3, v10, 12, v8
	v_cmp_gt_i32_e32 vcc, 1, v10
	v_cndmask_b32_e32 v2, v3, v2, vcc
	v_and_b32_e32 v3, 7, v2
	v_cmp_lt_i32_e32 vcc, 5, v3
	v_cmp_eq_u32_e64 s[0:1], 3, v3
	v_lshrrev_b32_e32 v2, 2, v2
	s_or_b64 vcc, s[0:1], vcc
	v_addc_co_u32_e32 v11, vcc, 0, v2, vcc
	v_add_u32_e32 v2, 0x600, v36
	ds_read2_b32 v[2:3], v2 offset0:45 offset1:188
	v_cmp_gt_i32_e32 vcc, 31, v10
	v_cndmask_b32_e32 v11, v4, v11, vcc
	v_cmp_ne_u32_e32 vcc, 0, v8
	v_cndmask_b32_e64 v8, 0, 1, vcc
	s_waitcnt lgkmcnt(0)
	v_lshrrev_b32_e32 v16, 16, v2
	s_waitcnt vmcnt(5)
	v_mul_f16_sdwa v17, v16, v12 dst_sel:DWORD dst_unused:UNUSED_PAD src0_sel:DWORD src1_sel:WORD_1
	v_fma_f16 v17, v2, v12, v17
	v_cvt_f32_f16_e32 v17, v17
	v_lshl_or_b32 v8, v8, 9, v4
	v_cmp_eq_u32_e32 vcc, s17, v10
	v_cndmask_b32_e32 v8, v11, v8, vcc
	v_cvt_f64_f32_e32 v[10:11], v17
	v_lshrrev_b32_e32 v9, 16, v9
	v_and_or_b32 v17, v9, s18, v8
	v_add_co_u32_e32 v0, vcc, s3, v0
	v_mul_f64 v[8:9], v[10:11], s[14:15]
	v_mov_b32_e32 v11, s2
	v_and_b32_e32 v15, 0xffff, v15
	v_addc_co_u32_e32 v1, vcc, v1, v11, vcc
	v_lshl_or_b32 v10, v17, 16, v15
	global_store_dword v[0:1], v10, off
	v_mul_f16_sdwa v2, v2, v12 dst_sel:DWORD dst_unused:UNUSED_PAD src0_sel:DWORD src1_sel:WORD_1
	v_and_or_b32 v8, v9, s10, v8
	v_cmp_ne_u32_e32 vcc, 0, v8
	v_cndmask_b32_e64 v8, 0, 1, vcc
	v_lshrrev_b32_e32 v10, 8, v9
	v_bfe_u32 v11, v9, 20, 11
	v_and_or_b32 v8, v10, s16, v8
	v_sub_u32_e32 v15, 0x3f1, v11
	v_or_b32_e32 v10, 0x1000, v8
	v_med3_i32 v15, v15, 0, 13
	v_lshrrev_b32_e32 v17, v15, v10
	v_lshlrev_b32_e32 v15, v15, v17
	v_cmp_ne_u32_e32 vcc, v15, v10
	v_fma_f16 v2, v12, v16, -v2
	v_cndmask_b32_e64 v10, 0, 1, vcc
	v_add_u32_e32 v15, 0xfffffc10, v11
	v_cvt_f32_f16_e32 v2, v2
	v_or_b32_e32 v10, v17, v10
	v_lshl_or_b32 v11, v15, 12, v8
	v_cmp_gt_i32_e32 vcc, 1, v15
	v_cndmask_b32_e32 v10, v11, v10, vcc
	v_and_b32_e32 v11, 7, v10
	v_cmp_lt_i32_e32 vcc, 5, v11
	v_cmp_eq_u32_e64 s[0:1], 3, v11
	v_lshrrev_b32_e32 v12, 2, v10
	v_cvt_f64_f32_e32 v[10:11], v2
	s_or_b64 vcc, s[0:1], vcc
	v_addc_co_u32_e32 v2, vcc, 0, v12, vcc
	v_mul_f64 v[10:11], v[10:11], s[14:15]
	v_cmp_gt_i32_e32 vcc, 31, v15
	v_cndmask_b32_e32 v2, v4, v2, vcc
	v_cmp_ne_u32_e32 vcc, 0, v8
	v_cndmask_b32_e64 v8, 0, 1, vcc
	v_lshl_or_b32 v8, v8, 9, v4
	v_cmp_eq_u32_e32 vcc, s17, v15
	v_cndmask_b32_e32 v2, v2, v8, vcc
	v_lshrrev_b32_e32 v8, 16, v9
	v_and_or_b32 v2, v8, s18, v2
	v_and_or_b32 v8, v11, s10, v10
	v_cmp_ne_u32_e32 vcc, 0, v8
	v_cndmask_b32_e64 v8, 0, 1, vcc
	v_lshrrev_b32_e32 v9, 8, v11
	v_bfe_u32 v10, v11, 20, 11
	v_and_or_b32 v8, v9, s16, v8
	v_sub_u32_e32 v12, 0x3f1, v10
	v_or_b32_e32 v9, 0x1000, v8
	v_med3_i32 v12, v12, 0, 13
	v_lshrrev_b32_e32 v15, v12, v9
	v_lshlrev_b32_e32 v12, v12, v15
	v_cmp_ne_u32_e32 vcc, v12, v9
	v_cndmask_b32_e64 v9, 0, 1, vcc
	v_add_u32_e32 v10, 0xfffffc10, v10
	v_or_b32_e32 v9, v15, v9
	v_lshl_or_b32 v12, v10, 12, v8
	v_cmp_gt_i32_e32 vcc, 1, v10
	v_cndmask_b32_e32 v9, v12, v9, vcc
	v_and_b32_e32 v12, 7, v9
	v_cmp_lt_i32_e32 vcc, 5, v12
	v_cmp_eq_u32_e64 s[0:1], 3, v12
	v_lshrrev_b32_e32 v12, 16, v3
	v_lshrrev_b32_e32 v9, 2, v9
	s_or_b64 vcc, s[0:1], vcc
	s_waitcnt vmcnt(5)
	v_mul_f16_sdwa v15, v12, v13 dst_sel:DWORD dst_unused:UNUSED_PAD src0_sel:DWORD src1_sel:WORD_1
	v_addc_co_u32_e32 v9, vcc, 0, v9, vcc
	v_fma_f16 v15, v3, v13, v15
	v_cmp_gt_i32_e32 vcc, 31, v10
	v_cvt_f32_f16_e32 v15, v15
	v_cndmask_b32_e32 v9, v4, v9, vcc
	v_cmp_ne_u32_e32 vcc, 0, v8
	v_cndmask_b32_e64 v8, 0, 1, vcc
	v_lshl_or_b32 v8, v8, 9, v4
	v_cmp_eq_u32_e32 vcc, s17, v10
	v_cndmask_b32_e32 v10, v9, v8, vcc
	v_cvt_f64_f32_e32 v[8:9], v15
	v_lshrrev_b32_e32 v11, 16, v11
	v_and_or_b32 v10, v11, s18, v10
	v_and_b32_e32 v2, 0xffff, v2
	v_mul_f64 v[8:9], v[8:9], s[14:15]
	v_lshl_or_b32 v2, v10, 16, v2
	v_mov_b32_e32 v10, s2
	v_add_co_u32_e32 v0, vcc, s3, v0
	v_addc_co_u32_e32 v1, vcc, v1, v10, vcc
	global_store_dword v[0:1], v2, off
	v_and_or_b32 v2, v9, s10, v8
	v_cmp_ne_u32_e32 vcc, 0, v2
	v_cndmask_b32_e64 v2, 0, 1, vcc
	v_lshrrev_b32_e32 v8, 8, v9
	v_bfe_u32 v10, v9, 20, 11
	v_and_or_b32 v8, v8, s16, v2
	v_sub_u32_e32 v11, 0x3f1, v10
	v_or_b32_e32 v2, 0x1000, v8
	v_med3_i32 v11, v11, 0, 13
	v_lshrrev_b32_e32 v15, v11, v2
	v_lshlrev_b32_e32 v11, v11, v15
	v_mul_f16_sdwa v3, v3, v13 dst_sel:DWORD dst_unused:UNUSED_PAD src0_sel:DWORD src1_sel:WORD_1
	v_cmp_ne_u32_e32 vcc, v11, v2
	v_fma_f16 v3, v13, v12, -v3
	v_cndmask_b32_e64 v2, 0, 1, vcc
	v_add_u32_e32 v10, 0xfffffc10, v10
	v_cvt_f32_f16_e32 v3, v3
	v_or_b32_e32 v2, v15, v2
	v_lshl_or_b32 v11, v10, 12, v8
	v_cmp_gt_i32_e32 vcc, 1, v10
	v_cndmask_b32_e32 v2, v11, v2, vcc
	v_and_b32_e32 v11, 7, v2
	v_cmp_lt_i32_e32 vcc, 5, v11
	v_cmp_eq_u32_e64 s[0:1], 3, v11
	v_lshrrev_b32_e32 v11, 2, v2
	v_cvt_f64_f32_e32 v[2:3], v3
	s_or_b64 vcc, s[0:1], vcc
	v_addc_co_u32_e32 v11, vcc, 0, v11, vcc
	v_mul_f64 v[2:3], v[2:3], s[14:15]
	v_cmp_gt_i32_e32 vcc, 31, v10
	v_cndmask_b32_e32 v11, v4, v11, vcc
	v_cmp_ne_u32_e32 vcc, 0, v8
	v_cndmask_b32_e64 v8, 0, 1, vcc
	v_lshl_or_b32 v8, v8, 9, v4
	v_cmp_eq_u32_e32 vcc, s17, v10
	v_cndmask_b32_e32 v8, v11, v8, vcc
	v_and_or_b32 v2, v3, s10, v2
	v_lshrrev_b32_e32 v9, 16, v9
	v_cmp_ne_u32_e32 vcc, 0, v2
	v_and_or_b32 v12, v9, s18, v8
	v_cndmask_b32_e64 v2, 0, 1, vcc
	v_lshrrev_b32_e32 v8, 8, v3
	v_bfe_u32 v9, v3, 20, 11
	v_and_or_b32 v2, v8, s16, v2
	v_sub_u32_e32 v10, 0x3f1, v9
	v_or_b32_e32 v8, 0x1000, v2
	v_med3_i32 v10, v10, 0, 13
	v_lshrrev_b32_e32 v11, v10, v8
	v_lshlrev_b32_e32 v10, v10, v11
	v_cmp_ne_u32_e32 vcc, v10, v8
	v_cndmask_b32_e64 v8, 0, 1, vcc
	v_add_u32_e32 v10, 0xfffffc10, v9
	v_or_b32_e32 v8, v11, v8
	v_lshl_or_b32 v9, v10, 12, v2
	v_cmp_gt_i32_e32 vcc, 1, v10
	v_cndmask_b32_e32 v8, v9, v8, vcc
	v_and_b32_e32 v9, 7, v8
	v_cmp_lt_i32_e32 vcc, 5, v9
	v_cmp_eq_u32_e64 s[0:1], 3, v9
	v_lshrrev_b32_e32 v8, 2, v8
	s_or_b64 vcc, s[0:1], vcc
	v_addc_co_u32_e32 v11, vcc, 0, v8, vcc
	v_add_u32_e32 v8, 0xa00, v36
	ds_read2_b32 v[8:9], v8 offset0:75 offset1:218
	v_cmp_gt_i32_e32 vcc, 31, v10
	v_cndmask_b32_e32 v11, v4, v11, vcc
	v_cmp_ne_u32_e32 vcc, 0, v2
	v_cndmask_b32_e64 v2, 0, 1, vcc
	s_waitcnt lgkmcnt(0)
	v_lshrrev_b32_e32 v13, 16, v8
	s_waitcnt vmcnt(5)
	v_mul_f16_sdwa v15, v13, v14 dst_sel:DWORD dst_unused:UNUSED_PAD src0_sel:DWORD src1_sel:WORD_1
	v_fma_f16 v15, v8, v14, v15
	v_cvt_f32_f16_e32 v15, v15
	v_lshl_or_b32 v2, v2, 9, v4
	v_cmp_eq_u32_e32 vcc, s17, v10
	v_cndmask_b32_e32 v2, v11, v2, vcc
	v_cvt_f64_f32_e32 v[10:11], v15
	v_lshrrev_b32_e32 v3, 16, v3
	v_and_or_b32 v15, v3, s18, v2
	v_add_co_u32_e32 v0, vcc, s3, v0
	v_mul_f64 v[2:3], v[10:11], s[14:15]
	v_mov_b32_e32 v11, s2
	v_and_b32_e32 v12, 0xffff, v12
	v_addc_co_u32_e32 v1, vcc, v1, v11, vcc
	v_lshl_or_b32 v10, v15, 16, v12
	global_store_dword v[0:1], v10, off
	v_mul_f16_sdwa v8, v8, v14 dst_sel:DWORD dst_unused:UNUSED_PAD src0_sel:DWORD src1_sel:WORD_1
	v_and_or_b32 v2, v3, s10, v2
	v_cmp_ne_u32_e32 vcc, 0, v2
	v_cndmask_b32_e64 v2, 0, 1, vcc
	v_lshrrev_b32_e32 v10, 8, v3
	v_bfe_u32 v11, v3, 20, 11
	v_and_or_b32 v2, v10, s16, v2
	v_sub_u32_e32 v12, 0x3f1, v11
	v_or_b32_e32 v10, 0x1000, v2
	v_med3_i32 v12, v12, 0, 13
	v_lshrrev_b32_e32 v15, v12, v10
	v_lshlrev_b32_e32 v12, v12, v15
	v_cmp_ne_u32_e32 vcc, v12, v10
	v_fma_f16 v8, v14, v13, -v8
	v_cndmask_b32_e64 v10, 0, 1, vcc
	v_add_u32_e32 v12, 0xfffffc10, v11
	v_cvt_f32_f16_e32 v8, v8
	v_or_b32_e32 v10, v15, v10
	v_lshl_or_b32 v11, v12, 12, v2
	v_cmp_gt_i32_e32 vcc, 1, v12
	v_cndmask_b32_e32 v10, v11, v10, vcc
	v_and_b32_e32 v11, 7, v10
	v_cmp_lt_i32_e32 vcc, 5, v11
	v_cmp_eq_u32_e64 s[0:1], 3, v11
	v_lshrrev_b32_e32 v13, 2, v10
	v_cvt_f64_f32_e32 v[10:11], v8
	s_or_b64 vcc, s[0:1], vcc
	v_addc_co_u32_e32 v8, vcc, 0, v13, vcc
	v_mul_f64 v[10:11], v[10:11], s[14:15]
	v_cmp_gt_i32_e32 vcc, 31, v12
	v_cndmask_b32_e32 v8, v4, v8, vcc
	v_cmp_ne_u32_e32 vcc, 0, v2
	v_cndmask_b32_e64 v2, 0, 1, vcc
	v_lshl_or_b32 v2, v2, 9, v4
	v_cmp_eq_u32_e32 vcc, s17, v12
	v_cndmask_b32_e32 v2, v8, v2, vcc
	v_lshrrev_b32_e32 v3, 16, v3
	v_and_or_b32 v8, v3, s18, v2
	v_and_or_b32 v2, v11, s10, v10
	v_cmp_ne_u32_e32 vcc, 0, v2
	v_cndmask_b32_e64 v2, 0, 1, vcc
	v_lshrrev_b32_e32 v3, 8, v11
	v_bfe_u32 v10, v11, 20, 11
	v_and_or_b32 v2, v3, s16, v2
	v_sub_u32_e32 v12, 0x3f1, v10
	v_or_b32_e32 v3, 0x1000, v2
	v_med3_i32 v12, v12, 0, 13
	v_lshrrev_b32_e32 v13, v12, v3
	v_lshlrev_b32_e32 v12, v12, v13
	v_cmp_ne_u32_e32 vcc, v12, v3
	v_cndmask_b32_e64 v3, 0, 1, vcc
	v_add_u32_e32 v10, 0xfffffc10, v10
	v_or_b32_e32 v3, v13, v3
	v_lshl_or_b32 v12, v10, 12, v2
	v_cmp_gt_i32_e32 vcc, 1, v10
	v_cndmask_b32_e32 v3, v12, v3, vcc
	v_and_b32_e32 v12, 7, v3
	v_cmp_lt_i32_e32 vcc, 5, v12
	v_cmp_eq_u32_e64 s[0:1], 3, v12
	v_lshrrev_b32_e32 v12, 16, v9
	v_lshrrev_b32_e32 v3, 2, v3
	s_or_b64 vcc, s[0:1], vcc
	s_waitcnt vmcnt(5)
	v_mul_f16_sdwa v13, v12, v7 dst_sel:DWORD dst_unused:UNUSED_PAD src0_sel:DWORD src1_sel:WORD_1
	v_addc_co_u32_e32 v3, vcc, 0, v3, vcc
	v_fma_f16 v13, v9, v7, v13
	v_cmp_gt_i32_e32 vcc, 31, v10
	v_cvt_f32_f16_e32 v13, v13
	v_cndmask_b32_e32 v3, v4, v3, vcc
	v_cmp_ne_u32_e32 vcc, 0, v2
	v_cndmask_b32_e64 v2, 0, 1, vcc
	v_lshl_or_b32 v2, v2, 9, v4
	v_cmp_eq_u32_e32 vcc, s17, v10
	v_cndmask_b32_e32 v10, v3, v2, vcc
	v_cvt_f64_f32_e32 v[2:3], v13
	global_load_dword v13, v36, s[6:7] offset:4004
	v_lshrrev_b32_e32 v11, 16, v11
	v_and_or_b32 v10, v11, s18, v10
	v_mul_f64 v[2:3], v[2:3], s[14:15]
	v_and_b32_e32 v8, 0xffff, v8
	v_lshl_or_b32 v8, v10, 16, v8
	v_mov_b32_e32 v11, s2
	v_add_co_u32_e32 v10, vcc, s3, v0
	v_addc_co_u32_e32 v11, vcc, v1, v11, vcc
	v_and_or_b32 v0, v3, s10, v2
	v_cmp_ne_u32_e32 vcc, 0, v0
	v_cndmask_b32_e64 v0, 0, 1, vcc
	v_lshrrev_b32_e32 v1, 8, v3
	v_and_or_b32 v2, v1, s16, v0
	v_bfe_u32 v1, v3, 20, 11
	global_store_dword v[10:11], v8, off
	v_sub_u32_e32 v8, 0x3f1, v1
	v_or_b32_e32 v0, 0x1000, v2
	v_med3_i32 v8, v8, 0, 13
	v_lshrrev_b32_e32 v14, v8, v0
	v_lshlrev_b32_e32 v8, v8, v14
	v_mul_f16_sdwa v9, v9, v7 dst_sel:DWORD dst_unused:UNUSED_PAD src0_sel:DWORD src1_sel:WORD_1
	v_cmp_ne_u32_e32 vcc, v8, v0
	v_fma_f16 v7, v7, v12, -v9
	v_cndmask_b32_e64 v0, 0, 1, vcc
	v_add_u32_e32 v8, 0xfffffc10, v1
	v_cvt_f32_f16_e32 v7, v7
	v_or_b32_e32 v0, v14, v0
	v_lshl_or_b32 v1, v8, 12, v2
	v_cmp_gt_i32_e32 vcc, 1, v8
	v_cndmask_b32_e32 v0, v1, v0, vcc
	v_and_b32_e32 v1, 7, v0
	v_cmp_lt_i32_e32 vcc, 5, v1
	v_cmp_eq_u32_e64 s[0:1], 3, v1
	v_lshrrev_b32_e32 v9, 2, v0
	v_cvt_f64_f32_e32 v[0:1], v7
	s_or_b64 vcc, s[0:1], vcc
	v_addc_co_u32_e32 v7, vcc, 0, v9, vcc
	v_mul_f64 v[0:1], v[0:1], s[14:15]
	v_cmp_gt_i32_e32 vcc, 31, v8
	v_cndmask_b32_e32 v7, v4, v7, vcc
	v_cmp_ne_u32_e32 vcc, 0, v2
	v_cndmask_b32_e64 v2, 0, 1, vcc
	v_lshl_or_b32 v2, v2, 9, v4
	v_cmp_eq_u32_e32 vcc, s17, v8
	v_cndmask_b32_e32 v2, v7, v2, vcc
	v_and_or_b32 v0, v1, s10, v0
	v_lshrrev_b32_e32 v3, 16, v3
	v_cmp_ne_u32_e32 vcc, 0, v0
	v_and_or_b32 v9, v3, s18, v2
	v_cndmask_b32_e64 v0, 0, 1, vcc
	v_lshrrev_b32_e32 v2, 8, v1
	v_bfe_u32 v3, v1, 20, 11
	v_and_or_b32 v0, v2, s16, v0
	v_sub_u32_e32 v7, 0x3f1, v3
	v_or_b32_e32 v2, 0x1000, v0
	v_med3_i32 v7, v7, 0, 13
	v_lshrrev_b32_e32 v8, v7, v2
	v_lshlrev_b32_e32 v7, v7, v8
	v_cmp_ne_u32_e32 vcc, v7, v2
	v_cndmask_b32_e64 v2, 0, 1, vcc
	v_add_u32_e32 v7, 0xfffffc10, v3
	v_or_b32_e32 v2, v8, v2
	v_lshl_or_b32 v3, v7, 12, v0
	v_cmp_gt_i32_e32 vcc, 1, v7
	v_cndmask_b32_e32 v2, v3, v2, vcc
	v_and_b32_e32 v3, 7, v2
	v_cmp_lt_i32_e32 vcc, 5, v3
	v_cmp_eq_u32_e64 s[0:1], 3, v3
	v_lshrrev_b32_e32 v2, 2, v2
	s_or_b64 vcc, s[0:1], vcc
	v_addc_co_u32_e32 v8, vcc, 0, v2, vcc
	v_add_u32_e32 v2, 0xe00, v36
	ds_read2_b32 v[2:3], v2 offset0:105 offset1:248
	v_cmp_gt_i32_e32 vcc, 31, v7
	v_cndmask_b32_e32 v8, v4, v8, vcc
	v_cmp_ne_u32_e32 vcc, 0, v0
	v_cndmask_b32_e64 v0, 0, 1, vcc
	s_waitcnt lgkmcnt(0)
	v_lshrrev_b32_e32 v12, 16, v2
	s_waitcnt vmcnt(1)
	v_mul_f16_sdwa v14, v12, v13 dst_sel:DWORD dst_unused:UNUSED_PAD src0_sel:DWORD src1_sel:WORD_1
	v_fma_f16 v14, v2, v13, v14
	v_cvt_f32_f16_e32 v14, v14
	v_lshl_or_b32 v0, v0, 9, v4
	v_cmp_eq_u32_e32 vcc, s17, v7
	v_cndmask_b32_e32 v0, v8, v0, vcc
	v_lshrrev_b32_e32 v1, 16, v1
	v_cvt_f64_f32_e32 v[7:8], v14
	v_and_or_b32 v14, v1, s18, v0
	v_add_co_u32_e32 v0, vcc, s19, v5
	v_addc_co_u32_e32 v1, vcc, 0, v6, vcc
	global_load_dword v15, v[0:1], off offset:480
	v_mul_f64 v[7:8], v[7:8], s[14:15]
	v_mov_b32_e32 v6, s2
	v_add_co_u32_e32 v5, vcc, s3, v10
	v_and_b32_e32 v9, 0xffff, v9
	v_addc_co_u32_e32 v6, vcc, v11, v6, vcc
	v_lshl_or_b32 v9, v14, 16, v9
	v_and_or_b32 v7, v8, s10, v7
	v_cmp_ne_u32_e32 vcc, 0, v7
	global_store_dword v[5:6], v9, off
	v_cndmask_b32_e64 v7, 0, 1, vcc
	v_lshrrev_b32_e32 v9, 8, v8
	v_bfe_u32 v10, v8, 20, 11
	v_and_or_b32 v7, v9, s16, v7
	v_sub_u32_e32 v11, 0x3f1, v10
	v_or_b32_e32 v9, 0x1000, v7
	v_med3_i32 v11, v11, 0, 13
	v_lshrrev_b32_e32 v14, v11, v9
	v_lshlrev_b32_e32 v11, v11, v14
	v_mul_f16_sdwa v2, v2, v13 dst_sel:DWORD dst_unused:UNUSED_PAD src0_sel:DWORD src1_sel:WORD_1
	v_cmp_ne_u32_e32 vcc, v11, v9
	v_fma_f16 v2, v13, v12, -v2
	v_cndmask_b32_e64 v9, 0, 1, vcc
	v_add_u32_e32 v11, 0xfffffc10, v10
	v_cvt_f32_f16_e32 v2, v2
	v_or_b32_e32 v9, v14, v9
	v_lshl_or_b32 v10, v11, 12, v7
	v_cmp_gt_i32_e32 vcc, 1, v11
	v_cndmask_b32_e32 v9, v10, v9, vcc
	v_and_b32_e32 v10, 7, v9
	v_cmp_lt_i32_e32 vcc, 5, v10
	v_cmp_eq_u32_e64 s[0:1], 3, v10
	v_lshrrev_b32_e32 v12, 2, v9
	v_cvt_f64_f32_e32 v[9:10], v2
	s_or_b64 vcc, s[0:1], vcc
	v_addc_co_u32_e32 v2, vcc, 0, v12, vcc
	v_mul_f64 v[9:10], v[9:10], s[14:15]
	v_cmp_gt_i32_e32 vcc, 31, v11
	v_cndmask_b32_e32 v2, v4, v2, vcc
	v_cmp_ne_u32_e32 vcc, 0, v7
	v_cndmask_b32_e64 v7, 0, 1, vcc
	v_lshl_or_b32 v7, v7, 9, v4
	v_cmp_eq_u32_e32 vcc, s17, v11
	v_cndmask_b32_e32 v2, v2, v7, vcc
	v_lshrrev_b32_e32 v7, 16, v8
	v_and_or_b32 v2, v7, s18, v2
	v_and_or_b32 v7, v10, s10, v9
	v_cmp_ne_u32_e32 vcc, 0, v7
	v_cndmask_b32_e64 v7, 0, 1, vcc
	v_lshrrev_b32_e32 v8, 8, v10
	v_bfe_u32 v9, v10, 20, 11
	v_and_or_b32 v7, v8, s16, v7
	v_sub_u32_e32 v11, 0x3f1, v9
	v_or_b32_e32 v8, 0x1000, v7
	v_med3_i32 v11, v11, 0, 13
	v_lshrrev_b32_e32 v12, v11, v8
	v_lshlrev_b32_e32 v11, v11, v12
	v_cmp_ne_u32_e32 vcc, v11, v8
	v_cndmask_b32_e64 v8, 0, 1, vcc
	v_or_b32_e32 v8, v12, v8
	global_load_dword v12, v[0:1], off offset:1052
	global_load_dword v13, v[0:1], off offset:1624
	;; [unrolled: 1-line block ×3, first 2 shown]
	v_add_u32_e32 v9, 0xfffffc10, v9
	v_lshl_or_b32 v11, v9, 12, v7
	v_cmp_gt_i32_e32 vcc, 1, v9
	v_cndmask_b32_e32 v8, v11, v8, vcc
	v_and_b32_e32 v11, 7, v8
	v_cmp_lt_i32_e32 vcc, 5, v11
	v_cmp_eq_u32_e64 s[0:1], 3, v11
	v_lshrrev_b32_e32 v11, 16, v3
	v_lshrrev_b32_e32 v8, 2, v8
	s_or_b64 vcc, s[0:1], vcc
	v_addc_co_u32_e32 v8, vcc, 0, v8, vcc
	v_cmp_gt_i32_e32 vcc, 31, v9
	v_cndmask_b32_e32 v8, v4, v8, vcc
	v_cmp_ne_u32_e32 vcc, 0, v7
	v_cndmask_b32_e64 v7, 0, 1, vcc
	s_waitcnt vmcnt(4)
	v_mul_f16_sdwa v16, v11, v15 dst_sel:DWORD dst_unused:UNUSED_PAD src0_sel:DWORD src1_sel:WORD_1
	v_fma_f16 v16, v3, v15, v16
	v_cvt_f32_f16_e32 v16, v16
	v_lshl_or_b32 v7, v7, 9, v4
	v_cmp_eq_u32_e32 vcc, s17, v9
	v_cndmask_b32_e32 v9, v8, v7, vcc
	v_cvt_f64_f32_e32 v[7:8], v16
	v_lshrrev_b32_e32 v10, 16, v10
	v_and_or_b32 v9, v10, s18, v9
	v_and_b32_e32 v2, 0xffff, v2
	v_mul_f64 v[7:8], v[7:8], s[14:15]
	v_lshl_or_b32 v2, v9, 16, v2
	v_mov_b32_e32 v9, s2
	v_add_co_u32_e32 v5, vcc, s3, v5
	v_addc_co_u32_e32 v6, vcc, v6, v9, vcc
	global_store_dword v[5:6], v2, off
	v_and_or_b32 v2, v8, s10, v7
	v_cmp_ne_u32_e32 vcc, 0, v2
	v_cndmask_b32_e64 v2, 0, 1, vcc
	v_lshrrev_b32_e32 v7, 8, v8
	v_bfe_u32 v9, v8, 20, 11
	v_and_or_b32 v7, v7, s16, v2
	v_sub_u32_e32 v10, 0x3f1, v9
	v_or_b32_e32 v2, 0x1000, v7
	v_med3_i32 v10, v10, 0, 13
	v_lshrrev_b32_e32 v16, v10, v2
	v_lshlrev_b32_e32 v10, v10, v16
	v_mul_f16_sdwa v3, v3, v15 dst_sel:DWORD dst_unused:UNUSED_PAD src0_sel:DWORD src1_sel:WORD_1
	v_cmp_ne_u32_e32 vcc, v10, v2
	v_fma_f16 v3, v15, v11, -v3
	v_cndmask_b32_e64 v2, 0, 1, vcc
	v_add_u32_e32 v9, 0xfffffc10, v9
	v_cvt_f32_f16_e32 v3, v3
	v_or_b32_e32 v2, v16, v2
	v_lshl_or_b32 v10, v9, 12, v7
	v_cmp_gt_i32_e32 vcc, 1, v9
	v_cndmask_b32_e32 v2, v10, v2, vcc
	v_and_b32_e32 v10, 7, v2
	v_cmp_lt_i32_e32 vcc, 5, v10
	v_cmp_eq_u32_e64 s[0:1], 3, v10
	v_lshrrev_b32_e32 v10, 2, v2
	v_cvt_f64_f32_e32 v[2:3], v3
	s_or_b64 vcc, s[0:1], vcc
	v_addc_co_u32_e32 v10, vcc, 0, v10, vcc
	v_mul_f64 v[2:3], v[2:3], s[14:15]
	v_cmp_gt_i32_e32 vcc, 31, v9
	v_cndmask_b32_e32 v10, v4, v10, vcc
	v_cmp_ne_u32_e32 vcc, 0, v7
	v_cndmask_b32_e64 v7, 0, 1, vcc
	v_lshl_or_b32 v7, v7, 9, v4
	v_cmp_eq_u32_e32 vcc, s17, v9
	v_cndmask_b32_e32 v7, v10, v7, vcc
	v_and_or_b32 v2, v3, s10, v2
	v_lshrrev_b32_e32 v8, 16, v8
	v_cmp_ne_u32_e32 vcc, 0, v2
	v_and_or_b32 v11, v8, s18, v7
	v_cndmask_b32_e64 v2, 0, 1, vcc
	v_lshrrev_b32_e32 v7, 8, v3
	v_bfe_u32 v8, v3, 20, 11
	v_and_or_b32 v2, v7, s16, v2
	v_sub_u32_e32 v9, 0x3f1, v8
	v_or_b32_e32 v7, 0x1000, v2
	v_med3_i32 v9, v9, 0, 13
	v_lshrrev_b32_e32 v10, v9, v7
	v_lshlrev_b32_e32 v9, v9, v10
	v_cmp_ne_u32_e32 vcc, v9, v7
	v_cndmask_b32_e64 v7, 0, 1, vcc
	v_add_u32_e32 v9, 0xfffffc10, v8
	v_or_b32_e32 v7, v10, v7
	v_lshl_or_b32 v8, v9, 12, v2
	v_cmp_gt_i32_e32 vcc, 1, v9
	v_cndmask_b32_e32 v7, v8, v7, vcc
	v_and_b32_e32 v8, 7, v7
	v_cmp_lt_i32_e32 vcc, 5, v8
	v_cmp_eq_u32_e64 s[0:1], 3, v8
	v_lshrrev_b32_e32 v7, 2, v7
	s_or_b64 vcc, s[0:1], vcc
	v_addc_co_u32_e32 v10, vcc, 0, v7, vcc
	v_add_u32_e32 v7, 0x1400, v36
	ds_read2_b32 v[7:8], v7 offset0:7 offset1:150
	v_cmp_gt_i32_e32 vcc, 31, v9
	v_cndmask_b32_e32 v10, v4, v10, vcc
	v_cmp_ne_u32_e32 vcc, 0, v2
	v_cndmask_b32_e64 v2, 0, 1, vcc
	s_waitcnt lgkmcnt(0)
	v_lshrrev_b32_e32 v15, 16, v7
	s_waitcnt vmcnt(3)
	v_mul_f16_sdwa v16, v15, v12 dst_sel:DWORD dst_unused:UNUSED_PAD src0_sel:DWORD src1_sel:WORD_1
	v_fma_f16 v16, v7, v12, v16
	v_cvt_f32_f16_e32 v16, v16
	v_lshl_or_b32 v2, v2, 9, v4
	v_cmp_eq_u32_e32 vcc, s17, v9
	v_cndmask_b32_e32 v2, v10, v2, vcc
	v_cvt_f64_f32_e32 v[9:10], v16
	v_lshrrev_b32_e32 v3, 16, v3
	v_and_or_b32 v16, v3, s18, v2
	v_add_co_u32_e32 v5, vcc, s3, v5
	v_mul_f64 v[2:3], v[9:10], s[14:15]
	v_mov_b32_e32 v10, s2
	v_and_b32_e32 v11, 0xffff, v11
	v_addc_co_u32_e32 v6, vcc, v6, v10, vcc
	v_lshl_or_b32 v9, v16, 16, v11
	global_store_dword v[5:6], v9, off
	v_mul_f16_sdwa v7, v7, v12 dst_sel:DWORD dst_unused:UNUSED_PAD src0_sel:DWORD src1_sel:WORD_1
	v_and_or_b32 v2, v3, s10, v2
	v_cmp_ne_u32_e32 vcc, 0, v2
	v_cndmask_b32_e64 v2, 0, 1, vcc
	v_lshrrev_b32_e32 v9, 8, v3
	v_bfe_u32 v10, v3, 20, 11
	v_and_or_b32 v2, v9, s16, v2
	v_sub_u32_e32 v11, 0x3f1, v10
	v_or_b32_e32 v9, 0x1000, v2
	v_med3_i32 v11, v11, 0, 13
	v_lshrrev_b32_e32 v16, v11, v9
	v_lshlrev_b32_e32 v11, v11, v16
	v_cmp_ne_u32_e32 vcc, v11, v9
	v_fma_f16 v7, v12, v15, -v7
	v_cndmask_b32_e64 v9, 0, 1, vcc
	v_add_u32_e32 v11, 0xfffffc10, v10
	v_cvt_f32_f16_e32 v7, v7
	v_or_b32_e32 v9, v16, v9
	v_lshl_or_b32 v10, v11, 12, v2
	v_cmp_gt_i32_e32 vcc, 1, v11
	v_cndmask_b32_e32 v9, v10, v9, vcc
	v_and_b32_e32 v10, 7, v9
	v_cmp_lt_i32_e32 vcc, 5, v10
	v_cmp_eq_u32_e64 s[0:1], 3, v10
	v_lshrrev_b32_e32 v12, 2, v9
	v_cvt_f64_f32_e32 v[9:10], v7
	s_or_b64 vcc, s[0:1], vcc
	v_addc_co_u32_e32 v7, vcc, 0, v12, vcc
	v_mul_f64 v[9:10], v[9:10], s[14:15]
	v_cmp_gt_i32_e32 vcc, 31, v11
	v_cndmask_b32_e32 v7, v4, v7, vcc
	v_cmp_ne_u32_e32 vcc, 0, v2
	v_cndmask_b32_e64 v2, 0, 1, vcc
	v_lshl_or_b32 v2, v2, 9, v4
	v_cmp_eq_u32_e32 vcc, s17, v11
	v_cndmask_b32_e32 v2, v7, v2, vcc
	v_lshrrev_b32_e32 v3, 16, v3
	v_and_or_b32 v7, v3, s18, v2
	v_and_or_b32 v2, v10, s10, v9
	v_cmp_ne_u32_e32 vcc, 0, v2
	v_cndmask_b32_e64 v2, 0, 1, vcc
	v_lshrrev_b32_e32 v3, 8, v10
	v_bfe_u32 v9, v10, 20, 11
	v_and_or_b32 v2, v3, s16, v2
	v_sub_u32_e32 v11, 0x3f1, v9
	v_or_b32_e32 v3, 0x1000, v2
	v_med3_i32 v11, v11, 0, 13
	v_lshrrev_b32_e32 v12, v11, v3
	v_lshlrev_b32_e32 v11, v11, v12
	v_cmp_ne_u32_e32 vcc, v11, v3
	v_cndmask_b32_e64 v3, 0, 1, vcc
	v_add_u32_e32 v9, 0xfffffc10, v9
	v_or_b32_e32 v3, v12, v3
	v_lshl_or_b32 v11, v9, 12, v2
	v_cmp_gt_i32_e32 vcc, 1, v9
	v_cndmask_b32_e32 v3, v11, v3, vcc
	v_and_b32_e32 v11, 7, v3
	v_cmp_lt_i32_e32 vcc, 5, v11
	v_cmp_eq_u32_e64 s[0:1], 3, v11
	v_lshrrev_b32_e32 v11, 16, v8
	v_lshrrev_b32_e32 v3, 2, v3
	s_or_b64 vcc, s[0:1], vcc
	s_waitcnt vmcnt(3)
	v_mul_f16_sdwa v12, v11, v13 dst_sel:DWORD dst_unused:UNUSED_PAD src0_sel:DWORD src1_sel:WORD_1
	v_addc_co_u32_e32 v3, vcc, 0, v3, vcc
	v_fma_f16 v12, v8, v13, v12
	v_cmp_gt_i32_e32 vcc, 31, v9
	v_cvt_f32_f16_e32 v12, v12
	v_cndmask_b32_e32 v3, v4, v3, vcc
	v_cmp_ne_u32_e32 vcc, 0, v2
	v_cndmask_b32_e64 v2, 0, 1, vcc
	v_lshl_or_b32 v2, v2, 9, v4
	v_cmp_eq_u32_e32 vcc, s17, v9
	v_cndmask_b32_e32 v9, v3, v2, vcc
	v_cvt_f64_f32_e32 v[2:3], v12
	v_lshrrev_b32_e32 v10, 16, v10
	v_and_or_b32 v9, v10, s18, v9
	v_and_b32_e32 v7, 0xffff, v7
	v_mul_f64 v[2:3], v[2:3], s[14:15]
	v_lshl_or_b32 v7, v9, 16, v7
	v_mov_b32_e32 v9, s2
	v_add_co_u32_e32 v5, vcc, s3, v5
	v_addc_co_u32_e32 v6, vcc, v6, v9, vcc
	global_store_dword v[5:6], v7, off
	v_and_or_b32 v2, v3, s10, v2
	v_cmp_ne_u32_e32 vcc, 0, v2
	v_cndmask_b32_e64 v2, 0, 1, vcc
	v_lshrrev_b32_e32 v7, 8, v3
	v_bfe_u32 v9, v3, 20, 11
	v_and_or_b32 v2, v7, s16, v2
	v_sub_u32_e32 v10, 0x3f1, v9
	v_or_b32_e32 v7, 0x1000, v2
	v_med3_i32 v10, v10, 0, 13
	v_lshrrev_b32_e32 v12, v10, v7
	v_lshlrev_b32_e32 v10, v10, v12
	v_mul_f16_sdwa v8, v8, v13 dst_sel:DWORD dst_unused:UNUSED_PAD src0_sel:DWORD src1_sel:WORD_1
	v_cmp_ne_u32_e32 vcc, v10, v7
	v_fma_f16 v8, v13, v11, -v8
	v_cndmask_b32_e64 v7, 0, 1, vcc
	v_add_u32_e32 v9, 0xfffffc10, v9
	v_cvt_f32_f16_e32 v8, v8
	v_or_b32_e32 v7, v12, v7
	v_lshl_or_b32 v10, v9, 12, v2
	v_cmp_gt_i32_e32 vcc, 1, v9
	v_cndmask_b32_e32 v7, v10, v7, vcc
	v_and_b32_e32 v10, 7, v7
	v_cmp_lt_i32_e32 vcc, 5, v10
	v_cmp_eq_u32_e64 s[0:1], 3, v10
	v_lshrrev_b32_e32 v10, 2, v7
	v_cvt_f64_f32_e32 v[7:8], v8
	s_or_b64 vcc, s[0:1], vcc
	v_addc_co_u32_e32 v10, vcc, 0, v10, vcc
	v_mul_f64 v[7:8], v[7:8], s[14:15]
	v_cmp_gt_i32_e32 vcc, 31, v9
	v_cndmask_b32_e32 v10, v4, v10, vcc
	v_cmp_ne_u32_e32 vcc, 0, v2
	v_cndmask_b32_e64 v2, 0, 1, vcc
	v_lshl_or_b32 v2, v2, 9, v4
	v_cmp_eq_u32_e32 vcc, s17, v9
	v_cndmask_b32_e32 v2, v10, v2, vcc
	v_lshrrev_b32_e32 v3, 16, v3
	v_and_or_b32 v11, v3, s18, v2
	v_and_or_b32 v2, v8, s10, v7
	v_cmp_ne_u32_e32 vcc, 0, v2
	v_cndmask_b32_e64 v2, 0, 1, vcc
	v_lshrrev_b32_e32 v3, 8, v8
	v_and_or_b32 v7, v3, s16, v2
	v_bfe_u32 v3, v8, 20, 11
	v_sub_u32_e32 v9, 0x3f1, v3
	v_or_b32_e32 v2, 0x1000, v7
	v_med3_i32 v9, v9, 0, 13
	v_lshrrev_b32_e32 v10, v9, v2
	v_lshlrev_b32_e32 v9, v9, v10
	v_cmp_ne_u32_e32 vcc, v9, v2
	v_cndmask_b32_e64 v2, 0, 1, vcc
	v_add_u32_e32 v9, 0xfffffc10, v3
	v_or_b32_e32 v2, v10, v2
	v_lshl_or_b32 v3, v9, 12, v7
	v_cmp_gt_i32_e32 vcc, 1, v9
	v_cndmask_b32_e32 v2, v3, v2, vcc
	v_and_b32_e32 v3, 7, v2
	v_cmp_lt_i32_e32 vcc, 5, v3
	v_cmp_eq_u32_e64 s[0:1], 3, v3
	v_lshrrev_b32_e32 v2, 2, v2
	s_or_b64 vcc, s[0:1], vcc
	v_addc_co_u32_e32 v10, vcc, 0, v2, vcc
	v_add_u32_e32 v2, 0x1800, v36
	ds_read2_b32 v[2:3], v2 offset0:37 offset1:180
	v_cmp_gt_i32_e32 vcc, 31, v9
	v_cndmask_b32_e32 v10, v4, v10, vcc
	v_cmp_ne_u32_e32 vcc, 0, v7
	v_cndmask_b32_e64 v7, 0, 1, vcc
	s_waitcnt lgkmcnt(0)
	v_lshrrev_b32_e32 v12, 16, v2
	s_waitcnt vmcnt(3)
	v_mul_f16_sdwa v13, v12, v14 dst_sel:DWORD dst_unused:UNUSED_PAD src0_sel:DWORD src1_sel:WORD_1
	v_fma_f16 v13, v2, v14, v13
	v_cvt_f32_f16_e32 v13, v13
	v_lshl_or_b32 v7, v7, 9, v4
	v_cmp_eq_u32_e32 vcc, s17, v9
	v_cndmask_b32_e32 v7, v10, v7, vcc
	v_cvt_f64_f32_e32 v[9:10], v13
	v_lshrrev_b32_e32 v8, 16, v8
	v_and_or_b32 v13, v8, s18, v7
	v_add_co_u32_e32 v5, vcc, s3, v5
	v_mul_f64 v[7:8], v[9:10], s[14:15]
	v_mov_b32_e32 v10, s2
	v_and_b32_e32 v11, 0xffff, v11
	v_addc_co_u32_e32 v6, vcc, v6, v10, vcc
	v_lshl_or_b32 v9, v13, 16, v11
	global_store_dword v[5:6], v9, off
	v_mul_f16_sdwa v2, v2, v14 dst_sel:DWORD dst_unused:UNUSED_PAD src0_sel:DWORD src1_sel:WORD_1
	v_and_or_b32 v7, v8, s10, v7
	v_cmp_ne_u32_e32 vcc, 0, v7
	v_cndmask_b32_e64 v7, 0, 1, vcc
	v_lshrrev_b32_e32 v9, 8, v8
	v_bfe_u32 v10, v8, 20, 11
	v_and_or_b32 v7, v9, s16, v7
	v_sub_u32_e32 v11, 0x3f1, v10
	v_or_b32_e32 v9, 0x1000, v7
	v_med3_i32 v11, v11, 0, 13
	v_lshrrev_b32_e32 v13, v11, v9
	v_lshlrev_b32_e32 v11, v11, v13
	v_cmp_ne_u32_e32 vcc, v11, v9
	v_fma_f16 v2, v14, v12, -v2
	v_cndmask_b32_e64 v9, 0, 1, vcc
	v_add_u32_e32 v11, 0xfffffc10, v10
	v_cvt_f32_f16_e32 v2, v2
	v_or_b32_e32 v9, v13, v9
	v_lshl_or_b32 v10, v11, 12, v7
	v_cmp_gt_i32_e32 vcc, 1, v11
	v_cndmask_b32_e32 v9, v10, v9, vcc
	v_and_b32_e32 v10, 7, v9
	v_cmp_lt_i32_e32 vcc, 5, v10
	v_cmp_eq_u32_e64 s[0:1], 3, v10
	v_lshrrev_b32_e32 v12, 2, v9
	v_cvt_f64_f32_e32 v[9:10], v2
	s_or_b64 vcc, s[0:1], vcc
	v_addc_co_u32_e32 v2, vcc, 0, v12, vcc
	v_mul_f64 v[9:10], v[9:10], s[14:15]
	v_cmp_gt_i32_e32 vcc, 31, v11
	v_cndmask_b32_e32 v2, v4, v2, vcc
	v_cmp_ne_u32_e32 vcc, 0, v7
	v_cndmask_b32_e64 v7, 0, 1, vcc
	v_lshl_or_b32 v7, v7, 9, v4
	v_cmp_eq_u32_e32 vcc, s17, v11
	v_cndmask_b32_e32 v2, v2, v7, vcc
	v_lshrrev_b32_e32 v7, 16, v8
	v_and_or_b32 v2, v7, s18, v2
	v_and_or_b32 v7, v10, s10, v9
	v_cmp_ne_u32_e32 vcc, 0, v7
	v_cndmask_b32_e64 v7, 0, 1, vcc
	v_lshrrev_b32_e32 v8, 8, v10
	v_bfe_u32 v9, v10, 20, 11
	v_and_or_b32 v7, v8, s16, v7
	v_sub_u32_e32 v11, 0x3f1, v9
	v_or_b32_e32 v8, 0x1000, v7
	v_med3_i32 v11, v11, 0, 13
	v_lshrrev_b32_e32 v12, v11, v8
	v_lshlrev_b32_e32 v11, v11, v12
	v_cmp_ne_u32_e32 vcc, v11, v8
	v_cndmask_b32_e64 v8, 0, 1, vcc
	v_add_u32_e32 v9, 0xfffffc10, v9
	v_or_b32_e32 v8, v12, v8
	v_lshl_or_b32 v11, v9, 12, v7
	v_cmp_gt_i32_e32 vcc, 1, v9
	v_cndmask_b32_e32 v8, v11, v8, vcc
	v_and_b32_e32 v11, 7, v8
	v_cmp_lt_i32_e32 vcc, 5, v11
	v_cmp_eq_u32_e64 s[0:1], 3, v11
	v_lshrrev_b32_e32 v8, 2, v8
	s_or_b64 vcc, s[0:1], vcc
	v_addc_co_u32_e32 v8, vcc, 0, v8, vcc
	v_cmp_gt_i32_e32 vcc, 31, v9
	v_cndmask_b32_e32 v8, v4, v8, vcc
	v_cmp_ne_u32_e32 vcc, 0, v7
	v_cndmask_b32_e64 v7, 0, 1, vcc
	v_lshl_or_b32 v7, v7, 9, v4
	v_cmp_eq_u32_e32 vcc, s17, v9
	v_cndmask_b32_e32 v7, v8, v7, vcc
	v_lshrrev_b32_e32 v8, 16, v10
	v_and_or_b32 v7, v8, s18, v7
	v_and_b32_e32 v2, 0xffff, v2
	v_lshl_or_b32 v2, v7, 16, v2
	v_mov_b32_e32 v7, s2
	v_add_co_u32_e32 v5, vcc, s3, v5
	v_addc_co_u32_e32 v6, vcc, v6, v7, vcc
	global_store_dword v[5:6], v2, off
	global_load_dword v2, v[0:1], off offset:2768
	v_lshrrev_b32_e32 v7, 16, v3
	s_waitcnt vmcnt(0)
	v_mul_f16_sdwa v0, v7, v2 dst_sel:DWORD dst_unused:UNUSED_PAD src0_sel:DWORD src1_sel:WORD_1
	v_fma_f16 v0, v3, v2, v0
	v_cvt_f32_f16_e32 v0, v0
	v_mul_f16_sdwa v3, v3, v2 dst_sel:DWORD dst_unused:UNUSED_PAD src0_sel:DWORD src1_sel:WORD_1
	v_fma_f16 v2, v2, v7, -v3
	v_cvt_f32_f16_e32 v2, v2
	v_cvt_f64_f32_e32 v[0:1], v0
	v_cvt_f64_f32_e32 v[2:3], v2
	v_mul_f64 v[0:1], v[0:1], s[14:15]
	v_mul_f64 v[2:3], v[2:3], s[14:15]
	v_and_or_b32 v0, v1, s10, v0
	v_cmp_ne_u32_e32 vcc, 0, v0
	v_cndmask_b32_e64 v0, 0, 1, vcc
	v_lshrrev_b32_e32 v8, 8, v1
	v_bfe_u32 v9, v1, 20, 11
	v_and_or_b32 v0, v8, s16, v0
	v_sub_u32_e32 v10, 0x3f1, v9
	v_or_b32_e32 v8, 0x1000, v0
	v_med3_i32 v10, v10, 0, 13
	v_lshrrev_b32_e32 v11, v10, v8
	v_lshlrev_b32_e32 v10, v10, v11
	v_cmp_ne_u32_e32 vcc, v10, v8
	v_cndmask_b32_e64 v8, 0, 1, vcc
	v_add_u32_e32 v9, 0xfffffc10, v9
	v_or_b32_e32 v8, v11, v8
	v_lshl_or_b32 v10, v9, 12, v0
	v_cmp_gt_i32_e32 vcc, 1, v9
	v_cndmask_b32_e32 v8, v10, v8, vcc
	v_and_b32_e32 v10, 7, v8
	v_cmp_lt_i32_e32 vcc, 5, v10
	v_cmp_eq_u32_e64 s[0:1], 3, v10
	v_lshrrev_b32_e32 v7, 2, v8
	s_or_b64 vcc, s[0:1], vcc
	v_addc_co_u32_e32 v7, vcc, 0, v7, vcc
	v_cmp_gt_i32_e32 vcc, 31, v9
	v_cndmask_b32_e32 v7, v4, v7, vcc
	v_cmp_ne_u32_e32 vcc, 0, v0
	v_cndmask_b32_e64 v0, 0, 1, vcc
	v_lshl_or_b32 v0, v0, 9, v4
	v_cmp_eq_u32_e32 vcc, s17, v9
	v_cndmask_b32_e32 v0, v7, v0, vcc
	v_lshrrev_b32_e32 v1, 16, v1
	v_and_or_b32 v0, v1, s18, v0
	v_and_or_b32 v1, v3, s10, v2
	v_cmp_ne_u32_e32 vcc, 0, v1
	v_cndmask_b32_e64 v1, 0, 1, vcc
	v_lshrrev_b32_e32 v2, 8, v3
	v_bfe_u32 v7, v3, 20, 11
	v_and_or_b32 v1, v2, s16, v1
	v_sub_u32_e32 v8, 0x3f1, v7
	v_or_b32_e32 v2, 0x1000, v1
	v_med3_i32 v8, v8, 0, 13
	v_lshrrev_b32_e32 v9, v8, v2
	v_lshlrev_b32_e32 v8, v8, v9
	v_cmp_ne_u32_e32 vcc, v8, v2
	v_cndmask_b32_e64 v2, 0, 1, vcc
	v_add_u32_e32 v7, 0xfffffc10, v7
	v_or_b32_e32 v2, v9, v2
	v_lshl_or_b32 v8, v7, 12, v1
	v_cmp_gt_i32_e32 vcc, 1, v7
	v_cndmask_b32_e32 v2, v8, v2, vcc
	v_and_b32_e32 v8, 7, v2
	v_cmp_lt_i32_e32 vcc, 5, v8
	v_cmp_eq_u32_e64 s[0:1], 3, v8
	v_lshrrev_b32_e32 v2, 2, v2
	s_or_b64 vcc, s[0:1], vcc
	v_addc_co_u32_e32 v2, vcc, 0, v2, vcc
	v_cmp_gt_i32_e32 vcc, 31, v7
	v_cndmask_b32_e32 v2, v4, v2, vcc
	v_cmp_ne_u32_e32 vcc, 0, v1
	v_cndmask_b32_e64 v1, 0, 1, vcc
	v_lshl_or_b32 v1, v1, 9, v4
	v_cmp_eq_u32_e32 vcc, s17, v7
	v_cndmask_b32_e32 v1, v2, v1, vcc
	v_lshrrev_b32_e32 v2, 16, v3
	v_and_or_b32 v1, v2, s18, v1
	v_and_b32_e32 v0, 0xffff, v0
	v_lshl_or_b32 v2, v1, 16, v0
	v_mov_b32_e32 v1, s2
	v_add_co_u32_e32 v0, vcc, s3, v5
	v_addc_co_u32_e32 v1, vcc, v6, v1, vcc
	global_store_dword v[0:1], v2, off
.LBB0_23:
	s_endpgm
	.section	.rodata,"a",@progbits
	.p2align	6, 0x0
	.amdhsa_kernel bluestein_single_back_len1859_dim1_half_op_CI_CI
		.amdhsa_group_segment_fixed_size 7436
		.amdhsa_private_segment_fixed_size 0
		.amdhsa_kernarg_size 104
		.amdhsa_user_sgpr_count 6
		.amdhsa_user_sgpr_private_segment_buffer 1
		.amdhsa_user_sgpr_dispatch_ptr 0
		.amdhsa_user_sgpr_queue_ptr 0
		.amdhsa_user_sgpr_kernarg_segment_ptr 1
		.amdhsa_user_sgpr_dispatch_id 0
		.amdhsa_user_sgpr_flat_scratch_init 0
		.amdhsa_user_sgpr_private_segment_size 0
		.amdhsa_uses_dynamic_stack 0
		.amdhsa_system_sgpr_private_segment_wavefront_offset 0
		.amdhsa_system_sgpr_workgroup_id_x 1
		.amdhsa_system_sgpr_workgroup_id_y 0
		.amdhsa_system_sgpr_workgroup_id_z 0
		.amdhsa_system_sgpr_workgroup_info 0
		.amdhsa_system_vgpr_workitem_id 0
		.amdhsa_next_free_vgpr 148
		.amdhsa_next_free_sgpr 30
		.amdhsa_reserve_vcc 1
		.amdhsa_reserve_flat_scratch 0
		.amdhsa_float_round_mode_32 0
		.amdhsa_float_round_mode_16_64 0
		.amdhsa_float_denorm_mode_32 3
		.amdhsa_float_denorm_mode_16_64 3
		.amdhsa_dx10_clamp 1
		.amdhsa_ieee_mode 1
		.amdhsa_fp16_overflow 0
		.amdhsa_exception_fp_ieee_invalid_op 0
		.amdhsa_exception_fp_denorm_src 0
		.amdhsa_exception_fp_ieee_div_zero 0
		.amdhsa_exception_fp_ieee_overflow 0
		.amdhsa_exception_fp_ieee_underflow 0
		.amdhsa_exception_fp_ieee_inexact 0
		.amdhsa_exception_int_div_zero 0
	.end_amdhsa_kernel
	.text
.Lfunc_end0:
	.size	bluestein_single_back_len1859_dim1_half_op_CI_CI, .Lfunc_end0-bluestein_single_back_len1859_dim1_half_op_CI_CI
                                        ; -- End function
	.section	.AMDGPU.csdata,"",@progbits
; Kernel info:
; codeLenInByte = 27256
; NumSgprs: 34
; NumVgprs: 148
; ScratchSize: 0
; MemoryBound: 0
; FloatMode: 240
; IeeeMode: 1
; LDSByteSize: 7436 bytes/workgroup (compile time only)
; SGPRBlocks: 4
; VGPRBlocks: 36
; NumSGPRsForWavesPerEU: 34
; NumVGPRsForWavesPerEU: 148
; Occupancy: 1
; WaveLimiterHint : 1
; COMPUTE_PGM_RSRC2:SCRATCH_EN: 0
; COMPUTE_PGM_RSRC2:USER_SGPR: 6
; COMPUTE_PGM_RSRC2:TRAP_HANDLER: 0
; COMPUTE_PGM_RSRC2:TGID_X_EN: 1
; COMPUTE_PGM_RSRC2:TGID_Y_EN: 0
; COMPUTE_PGM_RSRC2:TGID_Z_EN: 0
; COMPUTE_PGM_RSRC2:TIDIG_COMP_CNT: 0
	.type	__hip_cuid_b96c897617b81652,@object ; @__hip_cuid_b96c897617b81652
	.section	.bss,"aw",@nobits
	.globl	__hip_cuid_b96c897617b81652
__hip_cuid_b96c897617b81652:
	.byte	0                               ; 0x0
	.size	__hip_cuid_b96c897617b81652, 1

	.ident	"AMD clang version 19.0.0git (https://github.com/RadeonOpenCompute/llvm-project roc-6.4.0 25133 c7fe45cf4b819c5991fe208aaa96edf142730f1d)"
	.section	".note.GNU-stack","",@progbits
	.addrsig
	.addrsig_sym __hip_cuid_b96c897617b81652
	.amdgpu_metadata
---
amdhsa.kernels:
  - .args:
      - .actual_access:  read_only
        .address_space:  global
        .offset:         0
        .size:           8
        .value_kind:     global_buffer
      - .actual_access:  read_only
        .address_space:  global
        .offset:         8
        .size:           8
        .value_kind:     global_buffer
      - .actual_access:  read_only
        .address_space:  global
        .offset:         16
        .size:           8
        .value_kind:     global_buffer
      - .actual_access:  read_only
        .address_space:  global
        .offset:         24
        .size:           8
        .value_kind:     global_buffer
      - .actual_access:  read_only
        .address_space:  global
        .offset:         32
        .size:           8
        .value_kind:     global_buffer
      - .offset:         40
        .size:           8
        .value_kind:     by_value
      - .address_space:  global
        .offset:         48
        .size:           8
        .value_kind:     global_buffer
      - .address_space:  global
        .offset:         56
        .size:           8
        .value_kind:     global_buffer
      - .address_space:  global
        .offset:         64
        .size:           8
        .value_kind:     global_buffer
      - .address_space:  global
        .offset:         72
        .size:           8
        .value_kind:     global_buffer
      - .offset:         80
        .size:           4
        .value_kind:     by_value
      - .address_space:  global
        .offset:         88
        .size:           8
        .value_kind:     global_buffer
      - .address_space:  global
        .offset:         96
        .size:           8
        .value_kind:     global_buffer
    .group_segment_fixed_size: 7436
    .kernarg_segment_align: 8
    .kernarg_segment_size: 104
    .language:       OpenCL C
    .language_version:
      - 2
      - 0
    .max_flat_workgroup_size: 169
    .name:           bluestein_single_back_len1859_dim1_half_op_CI_CI
    .private_segment_fixed_size: 0
    .sgpr_count:     34
    .sgpr_spill_count: 0
    .symbol:         bluestein_single_back_len1859_dim1_half_op_CI_CI.kd
    .uniform_work_group_size: 1
    .uses_dynamic_stack: false
    .vgpr_count:     148
    .vgpr_spill_count: 0
    .wavefront_size: 64
amdhsa.target:   amdgcn-amd-amdhsa--gfx906
amdhsa.version:
  - 1
  - 2
...

	.end_amdgpu_metadata
